;; amdgpu-corpus repo=ROCm/vllm kind=compiled arch=gfx942 opt=O3
	.text
	.amdgcn_target "amdgcn-amd-amdhsa--gfx942"
	.amdhsa_code_object_version 6
	.section	.text._Z14LLGemm1_kernelIN3c104HalfELi2EEvPKT_S4_PS2_i,"axG",@progbits,_Z14LLGemm1_kernelIN3c104HalfELi2EEvPKT_S4_PS2_i,comdat
	.protected	_Z14LLGemm1_kernelIN3c104HalfELi2EEvPKT_S4_PS2_i ; -- Begin function _Z14LLGemm1_kernelIN3c104HalfELi2EEvPKT_S4_PS2_i
	.globl	_Z14LLGemm1_kernelIN3c104HalfELi2EEvPKT_S4_PS2_i
	.p2align	8
	.type	_Z14LLGemm1_kernelIN3c104HalfELi2EEvPKT_S4_PS2_i,@function
_Z14LLGemm1_kernelIN3c104HalfELi2EEvPKT_S4_PS2_i: ; @_Z14LLGemm1_kernelIN3c104HalfELi2EEvPKT_S4_PS2_i
; %bb.0:
	s_load_dword s3, s[0:1], 0x18
	s_load_dwordx4 s[4:7], s[0:1], 0x0
	s_load_dwordx2 s[8:9], s[0:1], 0x10
	v_lshlrev_b32_e32 v1, 3, v0
                                        ; implicit-def: $vgpr9
                                        ; implicit-def: $vgpr2
                                        ; implicit-def: $vgpr10
	s_waitcnt lgkmcnt(0)
	v_cmp_gt_i32_e32 vcc, s3, v1
	s_and_saveexec_b64 s[10:11], vcc
	s_cbranch_execz .LBB0_2
; %bb.1:
	v_mov_b32_e32 v2, s4
	s_mul_i32 s4, s2, s3
	s_bfe_u32 s4, s4, 0x1d0002
	v_mov_b32_e32 v3, s5
	v_add_u32_e32 v4, s4, v0
	v_mov_b32_e32 v5, 0
	s_lshr_b32 s4, s3, 3
	s_mov_b32 s5, 0
	v_lshl_add_u64 v[6:7], v[4:5], 4, v[2:3]
	v_lshl_add_u64 v[8:9], s[4:5], 4, v[6:7]
	v_lshlrev_b32_e32 v1, 4, v0
	global_load_dwordx4 v[10:13], v[6:7], off nt
	global_load_dwordx4 v[2:5], v[8:9], off nt
	s_nop 0
	global_load_dwordx4 v[6:9], v1, s[6:7]
.LBB0_2:
	s_or_b64 exec, exec, s[10:11]
	s_waitcnt vmcnt(0)
	v_pk_mul_f16 v2, v6, v2
	v_pk_mul_f16 v1, v6, v10
	v_pk_fma_f16 v2, v3, v7, v2
	v_pk_fma_f16 v1, v11, v7, v1
	;; [unrolled: 1-line block ×5, first 2 shown]
	v_mbcnt_lo_u32_b32 v2, -1, 0
	v_mbcnt_hi_u32_b32 v10, -1, v2
	v_pk_fma_f16 v1, v13, v9, v1
	v_and_b32_e32 v2, 64, v10
	v_add_u32_e32 v11, 64, v2
	v_cvt_f32_f16_e32 v3, v4
	v_cvt_f32_f16_e32 v2, v1
	v_cvt_f32_f16_sdwa v5, v4 dst_sel:DWORD dst_unused:UNUSED_PAD src0_sel:WORD_1
	v_cvt_f32_f16_sdwa v4, v1 dst_sel:DWORD dst_unused:UNUSED_PAD src0_sel:WORD_1
	v_xor_b32_e32 v6, 32, v10
	v_cmp_lt_i32_e64 s[4:5], v6, v11
	v_pk_add_f32 v[2:3], v[2:3], v[4:5]
	s_nop 0
	v_cndmask_b32_e64 v1, v10, v6, s[4:5]
	v_lshlrev_b32_e32 v1, 2, v1
	v_cndmask_b32_e32 v3, 0, v3, vcc
	v_cndmask_b32_e32 v2, 0, v2, vcc
	ds_bpermute_b32 v4, v1, v2
	ds_bpermute_b32 v5, v1, v3
	v_xor_b32_e32 v1, 16, v10
	v_cmp_lt_i32_e32 vcc, v1, v11
	s_waitcnt lgkmcnt(0)
	v_pk_add_f32 v[2:3], v[2:3], v[4:5]
	v_cndmask_b32_e32 v1, v10, v1, vcc
	v_lshlrev_b32_e32 v1, 2, v1
	ds_bpermute_b32 v6, v1, v2
	ds_bpermute_b32 v7, v1, v3
	v_xor_b32_e32 v4, 8, v10
	v_cmp_lt_i32_e32 vcc, v4, v11
	v_xor_b32_e32 v5, 4, v10
	s_waitcnt lgkmcnt(0)
	v_pk_add_f32 v[2:3], v[2:3], v[6:7]
	v_cndmask_b32_e32 v4, v10, v4, vcc
	v_lshlrev_b32_e32 v4, 2, v4
	ds_bpermute_b32 v6, v4, v2
	ds_bpermute_b32 v7, v4, v3
	v_cmp_lt_i32_e32 vcc, v5, v11
	s_waitcnt lgkmcnt(0)
	v_pk_add_f32 v[2:3], v[2:3], v[6:7]
	v_cndmask_b32_e32 v5, v10, v5, vcc
	v_lshlrev_b32_e32 v5, 2, v5
	ds_bpermute_b32 v8, v5, v2
	ds_bpermute_b32 v9, v5, v3
	v_xor_b32_e32 v6, 2, v10
	v_cmp_lt_i32_e32 vcc, v6, v11
	v_xor_b32_e32 v7, 1, v10
	s_waitcnt lgkmcnt(0)
	v_pk_add_f32 v[2:3], v[2:3], v[8:9]
	v_cndmask_b32_e32 v6, v10, v6, vcc
	v_lshlrev_b32_e32 v6, 2, v6
	ds_bpermute_b32 v8, v6, v2
	ds_bpermute_b32 v9, v6, v3
	v_cmp_lt_i32_e32 vcc, v7, v11
	s_waitcnt lgkmcnt(0)
	v_pk_add_f32 v[2:3], v[2:3], v[8:9]
	v_cndmask_b32_e32 v7, v10, v7, vcc
	v_lshlrev_b32_e32 v7, 2, v7
	ds_bpermute_b32 v8, v7, v2
	ds_bpermute_b32 v9, v7, v3
	v_and_b32_e32 v10, 63, v0
	v_cmp_gt_u32_e32 vcc, 2, v10
	s_and_saveexec_b64 s[4:5], vcc
	s_cbranch_execz .LBB0_4
; %bb.3:
	v_lshrrev_b32_e32 v11, 4, v0
	v_cmp_eq_u32_e32 vcc, 1, v10
	v_and_b32_e32 v11, 60, v11
	v_lshl_or_b32 v11, v10, 8, v11
	s_waitcnt lgkmcnt(0)
	v_cndmask_b32_e32 v8, v8, v9, vcc
	v_cndmask_b32_e32 v2, v2, v3, vcc
	v_add_f32_e32 v2, v2, v8
	ds_write_b32 v11, v2
.LBB0_4:
	s_or_b64 exec, exec, s[4:5]
	v_cmp_gt_u32_e32 vcc, 32, v0
	s_waitcnt lgkmcnt(0)
	s_barrier
	s_and_saveexec_b64 s[4:5], vcc
	s_cbranch_execz .LBB0_9
; %bb.5:
	s_load_dword s0, s[0:1], 0x2c
	v_and_b32_e32 v3, 15, v0
	v_mov_b32_e32 v2, 0
	s_waitcnt lgkmcnt(0)
	s_and_b32 s0, 0xffff, s0
	s_lshr_b32 s0, s0, 6
	v_cmp_gt_u32_e32 vcc, s0, v3
	s_and_saveexec_b64 s[0:1], vcc
	s_cbranch_execz .LBB0_7
; %bb.6:
	v_lshlrev_b32_e32 v2, 2, v3
	v_lshlrev_b32_e32 v3, 4, v0
	s_movk_i32 s3, 0x3f00
	v_and_or_b32 v2, v3, s3, v2
	ds_read_b32 v2, v2
.LBB0_7:
	s_or_b64 exec, exec, s[0:1]
	s_waitcnt lgkmcnt(0)
	ds_bpermute_b32 v3, v4, v2
	s_mov_b32 s1, 0
	v_cmp_eq_u32_e32 vcc, 0, v0
	s_waitcnt lgkmcnt(0)
	v_add_f32_e32 v2, v2, v3
	ds_bpermute_b32 v3, v5, v2
	s_waitcnt lgkmcnt(0)
	v_add_f32_e32 v2, v2, v3
	ds_bpermute_b32 v3, v6, v2
	;; [unrolled: 3-line block ×4, first 2 shown]
	s_and_b64 exec, exec, vcc
	s_cbranch_execz .LBB0_9
; %bb.8:
	v_cvt_f16_f32_e32 v0, v2
	s_waitcnt lgkmcnt(0)
	v_cvt_f16_f32_e32 v1, v1
	s_and_b32 s0, s2, 0x7fffffff
	s_lshl_b64 s[0:1], s[0:1], 2
	s_add_u32 s0, s8, s0
	v_pack_b32_f16 v0, v0, v1
	s_addc_u32 s1, s9, s1
	v_mov_b32_e32 v1, 0
	global_store_dword v1, v0, s[0:1]
.LBB0_9:
	s_endpgm
	.section	.rodata,"a",@progbits
	.p2align	6, 0x0
	.amdhsa_kernel _Z14LLGemm1_kernelIN3c104HalfELi2EEvPKT_S4_PS2_i
		.amdhsa_group_segment_fixed_size 512
		.amdhsa_private_segment_fixed_size 0
		.amdhsa_kernarg_size 288
		.amdhsa_user_sgpr_count 2
		.amdhsa_user_sgpr_dispatch_ptr 0
		.amdhsa_user_sgpr_queue_ptr 0
		.amdhsa_user_sgpr_kernarg_segment_ptr 1
		.amdhsa_user_sgpr_dispatch_id 0
		.amdhsa_user_sgpr_kernarg_preload_length 0
		.amdhsa_user_sgpr_kernarg_preload_offset 0
		.amdhsa_user_sgpr_private_segment_size 0
		.amdhsa_uses_dynamic_stack 0
		.amdhsa_enable_private_segment 0
		.amdhsa_system_sgpr_workgroup_id_x 1
		.amdhsa_system_sgpr_workgroup_id_y 0
		.amdhsa_system_sgpr_workgroup_id_z 0
		.amdhsa_system_sgpr_workgroup_info 0
		.amdhsa_system_vgpr_workitem_id 0
		.amdhsa_next_free_vgpr 14
		.amdhsa_next_free_sgpr 12
		.amdhsa_accum_offset 16
		.amdhsa_reserve_vcc 1
		.amdhsa_float_round_mode_32 0
		.amdhsa_float_round_mode_16_64 0
		.amdhsa_float_denorm_mode_32 3
		.amdhsa_float_denorm_mode_16_64 3
		.amdhsa_dx10_clamp 1
		.amdhsa_ieee_mode 1
		.amdhsa_fp16_overflow 0
		.amdhsa_tg_split 0
		.amdhsa_exception_fp_ieee_invalid_op 0
		.amdhsa_exception_fp_denorm_src 0
		.amdhsa_exception_fp_ieee_div_zero 0
		.amdhsa_exception_fp_ieee_overflow 0
		.amdhsa_exception_fp_ieee_underflow 0
		.amdhsa_exception_fp_ieee_inexact 0
		.amdhsa_exception_int_div_zero 0
	.end_amdhsa_kernel
	.section	.text._Z14LLGemm1_kernelIN3c104HalfELi2EEvPKT_S4_PS2_i,"axG",@progbits,_Z14LLGemm1_kernelIN3c104HalfELi2EEvPKT_S4_PS2_i,comdat
.Lfunc_end0:
	.size	_Z14LLGemm1_kernelIN3c104HalfELi2EEvPKT_S4_PS2_i, .Lfunc_end0-_Z14LLGemm1_kernelIN3c104HalfELi2EEvPKT_S4_PS2_i
                                        ; -- End function
	.section	.AMDGPU.csdata,"",@progbits
; Kernel info:
; codeLenInByte = 836
; NumSgprs: 18
; NumVgprs: 14
; NumAgprs: 0
; TotalNumVgprs: 14
; ScratchSize: 0
; MemoryBound: 0
; FloatMode: 240
; IeeeMode: 1
; LDSByteSize: 512 bytes/workgroup (compile time only)
; SGPRBlocks: 2
; VGPRBlocks: 1
; NumSGPRsForWavesPerEU: 18
; NumVGPRsForWavesPerEU: 14
; AccumOffset: 16
; Occupancy: 8
; WaveLimiterHint : 0
; COMPUTE_PGM_RSRC2:SCRATCH_EN: 0
; COMPUTE_PGM_RSRC2:USER_SGPR: 2
; COMPUTE_PGM_RSRC2:TRAP_HANDLER: 0
; COMPUTE_PGM_RSRC2:TGID_X_EN: 1
; COMPUTE_PGM_RSRC2:TGID_Y_EN: 0
; COMPUTE_PGM_RSRC2:TGID_Z_EN: 0
; COMPUTE_PGM_RSRC2:TIDIG_COMP_CNT: 0
; COMPUTE_PGM_RSRC3_GFX90A:ACCUM_OFFSET: 3
; COMPUTE_PGM_RSRC3_GFX90A:TG_SPLIT: 0
	.section	.text._Z14LLGemm1_kernelIN3c104HalfELi4EEvPKT_S4_PS2_i,"axG",@progbits,_Z14LLGemm1_kernelIN3c104HalfELi4EEvPKT_S4_PS2_i,comdat
	.protected	_Z14LLGemm1_kernelIN3c104HalfELi4EEvPKT_S4_PS2_i ; -- Begin function _Z14LLGemm1_kernelIN3c104HalfELi4EEvPKT_S4_PS2_i
	.globl	_Z14LLGemm1_kernelIN3c104HalfELi4EEvPKT_S4_PS2_i
	.p2align	8
	.type	_Z14LLGemm1_kernelIN3c104HalfELi4EEvPKT_S4_PS2_i,@function
_Z14LLGemm1_kernelIN3c104HalfELi4EEvPKT_S4_PS2_i: ; @_Z14LLGemm1_kernelIN3c104HalfELi4EEvPKT_S4_PS2_i
; %bb.0:
	s_load_dword s3, s[0:1], 0x18
	s_load_dwordx4 s[4:7], s[0:1], 0x0
	s_load_dwordx2 s[8:9], s[0:1], 0x10
	v_lshlrev_b32_e32 v1, 3, v0
                                        ; implicit-def: $vgpr9
                                        ; implicit-def: $vgpr2
                                        ; implicit-def: $vgpr14
                                        ; implicit-def: $vgpr10
                                        ; implicit-def: $vgpr18
	s_waitcnt lgkmcnt(0)
	v_cmp_gt_i32_e32 vcc, s3, v1
	s_and_saveexec_b64 s[10:11], vcc
	s_cbranch_execz .LBB1_2
; %bb.1:
	s_mul_i32 s12, s2, s3
	s_bfe_u32 s12, s12, 0x1d0001
	v_add_u32_e32 v2, s12, v0
	s_lshr_b32 s12, s3, 3
	v_mov_b32_e32 v3, 0
	s_mov_b32 s13, 0
	v_lshl_add_u64 v[4:5], v[2:3], 4, s[4:5]
	s_add_i32 s3, s12, s12
	v_lshl_add_u64 v[6:7], s[12:13], 4, v[4:5]
	v_add_u32_e32 v2, s3, v2
	global_load_dwordx4 v[18:21], v[4:5], off nt
	global_load_dwordx4 v[10:13], v[6:7], off nt
	v_lshl_add_u64 v[6:7], v[2:3], 4, s[4:5]
	v_add_u32_e32 v2, s12, v2
	v_lshl_add_u64 v[8:9], v[2:3], 4, s[4:5]
	v_lshlrev_b32_e32 v1, 4, v0
	global_load_dwordx4 v[14:17], v[6:7], off nt
	global_load_dwordx4 v[2:5], v[8:9], off nt
	s_nop 0
	global_load_dwordx4 v[6:9], v1, s[6:7]
.LBB1_2:
	s_or_b64 exec, exec, s[10:11]
	s_waitcnt vmcnt(0)
	v_pk_mul_f16 v1, v6, v18
	s_nop 0
	v_pk_fma_f16 v1, v19, v7, v1
	s_nop 0
	v_pk_fma_f16 v1, v20, v8, v1
	s_nop 0
	v_pk_fma_f16 v18, v21, v9, v1
	v_pk_mul_f16 v1, v6, v10
	s_nop 0
	v_pk_fma_f16 v1, v11, v7, v1
	s_nop 0
	v_pk_fma_f16 v1, v12, v8, v1
	s_nop 0
	v_pk_fma_f16 v10, v13, v9, v1
	;; [unrolled: 7-line block ×3, first 2 shown]
	v_pk_mul_f16 v1, v6, v2
	s_nop 0
	v_pk_fma_f16 v1, v3, v7, v1
	v_cvt_f32_f16_e32 v3, v10
	v_pk_fma_f16 v1, v4, v8, v1
	v_cvt_f32_f16_sdwa v4, v18 dst_sel:DWORD dst_unused:UNUSED_PAD src0_sel:WORD_1
	v_pk_fma_f16 v7, v5, v9, v1
	v_mbcnt_lo_u32_b32 v1, -1, 0
	v_mbcnt_hi_u32_b32 v14, -1, v1
	v_and_b32_e32 v1, 64, v14
	v_add_u32_e32 v15, 64, v1
	v_xor_b32_e32 v1, 32, v14
	v_cmp_lt_i32_e64 s[4:5], v1, v15
	v_xor_b32_e32 v2, 8, v14
	v_cvt_f32_f16_sdwa v5, v10 dst_sel:DWORD dst_unused:UNUSED_PAD src0_sel:WORD_1
	v_cndmask_b32_e64 v1, v14, v1, s[4:5]
	v_lshlrev_b32_e32 v12, 2, v1
	v_xor_b32_e32 v1, 16, v14
	v_cmp_lt_i32_e64 s[4:5], v1, v15
	v_xor_b32_e32 v8, 4, v14
	v_cvt_f32_f16_sdwa v9, v7 dst_sel:DWORD dst_unused:UNUSED_PAD src0_sel:WORD_1
	v_cndmask_b32_e64 v1, v14, v1, s[4:5]
	v_cmp_lt_i32_e64 s[4:5], v2, v15
	v_lshlrev_b32_e32 v1, 2, v1
	s_nop 0
	v_cndmask_b32_e64 v2, v14, v2, s[4:5]
	v_lshlrev_b32_e32 v6, 2, v2
	v_cvt_f32_f16_e32 v2, v18
	v_cmp_lt_i32_e64 s[4:5], v8, v15
	v_pk_add_f32 v[2:3], v[2:3], v[4:5]
	s_nop 0
	v_cndmask_b32_e64 v13, v14, v8, s[4:5]
	v_cvt_f32_f16_e32 v5, v7
	v_cvt_f32_f16_e32 v4, v11
	v_cvt_f32_f16_sdwa v8, v11 dst_sel:DWORD dst_unused:UNUSED_PAD src0_sel:WORD_1
	v_cndmask_b32_e32 v3, 0, v3, vcc
	v_cndmask_b32_e32 v2, 0, v2, vcc
	ds_bpermute_b32 v10, v12, v2
	v_pk_add_f32 v[4:5], v[4:5], v[8:9]
	ds_bpermute_b32 v11, v12, v3
	v_cndmask_b32_e32 v5, 0, v5, vcc
	v_cndmask_b32_e32 v4, 0, v4, vcc
	ds_bpermute_b32 v8, v12, v4
	ds_bpermute_b32 v9, v12, v5
	s_waitcnt lgkmcnt(2)
	v_pk_add_f32 v[2:3], v[2:3], v[10:11]
	ds_bpermute_b32 v10, v1, v2
	ds_bpermute_b32 v11, v1, v3
	v_xor_b32_e32 v12, 2, v14
	s_waitcnt lgkmcnt(2)
	v_pk_add_f32 v[4:5], v[4:5], v[8:9]
	ds_bpermute_b32 v8, v1, v4
	ds_bpermute_b32 v9, v1, v5
	s_waitcnt lgkmcnt(2)
	v_pk_add_f32 v[2:3], v[2:3], v[10:11]
	ds_bpermute_b32 v10, v6, v2
	ds_bpermute_b32 v11, v6, v3
	v_lshlrev_b32_e32 v7, 2, v13
	s_waitcnt lgkmcnt(2)
	v_pk_add_f32 v[4:5], v[4:5], v[8:9]
	ds_bpermute_b32 v8, v6, v4
	ds_bpermute_b32 v9, v6, v5
	v_cmp_lt_i32_e32 vcc, v12, v15
	s_waitcnt lgkmcnt(2)
	v_pk_add_f32 v[2:3], v[2:3], v[10:11]
	ds_bpermute_b32 v10, v7, v2
	v_cndmask_b32_e32 v16, v14, v12, vcc
	s_waitcnt lgkmcnt(1)
	v_pk_add_f32 v[4:5], v[4:5], v[8:9]
	ds_bpermute_b32 v11, v7, v3
	ds_bpermute_b32 v12, v7, v4
	;; [unrolled: 1-line block ×3, first 2 shown]
	v_lshlrev_b32_e32 v8, 2, v16
	v_xor_b32_e32 v9, 1, v14
	s_waitcnt lgkmcnt(2)
	v_pk_add_f32 v[2:3], v[2:3], v[10:11]
	ds_bpermute_b32 v10, v8, v2
	s_waitcnt lgkmcnt(1)
	v_pk_add_f32 v[4:5], v[4:5], v[12:13]
	ds_bpermute_b32 v11, v8, v3
	ds_bpermute_b32 v12, v8, v4
	;; [unrolled: 1-line block ×3, first 2 shown]
	v_cmp_lt_i32_e32 vcc, v9, v15
	s_waitcnt lgkmcnt(2)
	v_pk_add_f32 v[2:3], v[2:3], v[10:11]
	v_cndmask_b32_e32 v9, v14, v9, vcc
	s_waitcnt lgkmcnt(0)
	v_pk_add_f32 v[4:5], v[4:5], v[12:13]
	v_lshlrev_b32_e32 v9, 2, v9
	ds_bpermute_b32 v11, v9, v2
	ds_bpermute_b32 v14, v9, v3
	;; [unrolled: 1-line block ×4, first 2 shown]
	v_and_b32_e32 v13, 63, v0
	v_cmp_gt_u32_e32 vcc, 4, v13
	s_and_saveexec_b64 s[10:11], vcc
	s_cbranch_execz .LBB1_4
; %bb.3:
	v_cmp_eq_u32_e32 vcc, 1, v13
	v_cmp_eq_u32_e64 s[4:5], 2, v13
	v_lshrrev_b32_e32 v15, 4, v0
	s_waitcnt lgkmcnt(2)
	v_cndmask_b32_e32 v11, v11, v14, vcc
	v_cndmask_b32_e32 v2, v2, v3, vcc
	s_waitcnt lgkmcnt(1)
	v_cndmask_b32_e64 v11, v11, v12, s[4:5]
	v_cmp_eq_u32_e64 s[6:7], 3, v13
	v_cndmask_b32_e64 v2, v2, v4, s[4:5]
	v_and_b32_e32 v15, 60, v15
	s_waitcnt lgkmcnt(0)
	v_cndmask_b32_e64 v10, v11, v10, s[6:7]
	v_cndmask_b32_e64 v2, v2, v5, s[6:7]
	v_lshl_or_b32 v15, v13, 8, v15
	v_add_f32_e32 v2, v2, v10
	ds_write_b32 v15, v2
.LBB1_4:
	s_or_b64 exec, exec, s[10:11]
	v_cmp_gt_u32_e32 vcc, 64, v0
	s_waitcnt lgkmcnt(0)
	s_barrier
	s_and_saveexec_b64 s[4:5], vcc
	s_cbranch_execz .LBB1_9
; %bb.5:
	s_load_dword s0, s[0:1], 0x2c
	v_and_b32_e32 v3, 15, v0
	v_mov_b32_e32 v2, 0
	s_waitcnt lgkmcnt(0)
	s_and_b32 s0, 0xffff, s0
	s_lshr_b32 s0, s0, 6
	v_cmp_gt_u32_e32 vcc, s0, v3
	s_and_saveexec_b64 s[0:1], vcc
	s_cbranch_execz .LBB1_7
; %bb.6:
	v_lshlrev_b32_e32 v2, 2, v3
	v_lshlrev_b32_e32 v3, 4, v0
	s_movk_i32 s3, 0x3f00
	v_and_or_b32 v2, v3, s3, v2
	ds_read_b32 v2, v2
.LBB1_7:
	s_or_b64 exec, exec, s[0:1]
	s_waitcnt lgkmcnt(0)
	ds_bpermute_b32 v3, v6, v2
	s_waitcnt lgkmcnt(0)
	v_add_f32_e32 v2, v2, v3
	ds_bpermute_b32 v3, v7, v2
	s_waitcnt lgkmcnt(0)
	v_add_f32_e32 v2, v2, v3
	;; [unrolled: 3-line block ×4, first 2 shown]
	ds_bpermute_b32 v1, v1, v2
	v_and_b32_e32 v3, 31, v0
	v_cmp_eq_u32_e32 vcc, 0, v3
	s_and_b64 exec, exec, vcc
	s_cbranch_execz .LBB1_9
; %bb.8:
	v_cvt_f16_f32_e32 v4, v2
	s_waitcnt lgkmcnt(0)
	v_cvt_f16_f32_e32 v1, v1
	s_lshl_b32 s0, s2, 1
	s_and_b32 s0, s0, 0x7ffffffe
	v_lshrrev_b32_e32 v0, 5, v0
	v_mov_b32_e32 v2, s8
	v_mov_b32_e32 v3, s9
	v_pack_b32_f16 v4, v4, v1
	v_or_b32_e32 v0, s0, v0
	v_mov_b32_e32 v1, 0
	v_lshl_add_u64 v[0:1], v[0:1], 2, v[2:3]
	global_store_dword v[0:1], v4, off
.LBB1_9:
	s_endpgm
	.section	.rodata,"a",@progbits
	.p2align	6, 0x0
	.amdhsa_kernel _Z14LLGemm1_kernelIN3c104HalfELi4EEvPKT_S4_PS2_i
		.amdhsa_group_segment_fixed_size 1024
		.amdhsa_private_segment_fixed_size 0
		.amdhsa_kernarg_size 288
		.amdhsa_user_sgpr_count 2
		.amdhsa_user_sgpr_dispatch_ptr 0
		.amdhsa_user_sgpr_queue_ptr 0
		.amdhsa_user_sgpr_kernarg_segment_ptr 1
		.amdhsa_user_sgpr_dispatch_id 0
		.amdhsa_user_sgpr_kernarg_preload_length 0
		.amdhsa_user_sgpr_kernarg_preload_offset 0
		.amdhsa_user_sgpr_private_segment_size 0
		.amdhsa_uses_dynamic_stack 0
		.amdhsa_enable_private_segment 0
		.amdhsa_system_sgpr_workgroup_id_x 1
		.amdhsa_system_sgpr_workgroup_id_y 0
		.amdhsa_system_sgpr_workgroup_id_z 0
		.amdhsa_system_sgpr_workgroup_info 0
		.amdhsa_system_vgpr_workitem_id 0
		.amdhsa_next_free_vgpr 22
		.amdhsa_next_free_sgpr 14
		.amdhsa_accum_offset 24
		.amdhsa_reserve_vcc 1
		.amdhsa_float_round_mode_32 0
		.amdhsa_float_round_mode_16_64 0
		.amdhsa_float_denorm_mode_32 3
		.amdhsa_float_denorm_mode_16_64 3
		.amdhsa_dx10_clamp 1
		.amdhsa_ieee_mode 1
		.amdhsa_fp16_overflow 0
		.amdhsa_tg_split 0
		.amdhsa_exception_fp_ieee_invalid_op 0
		.amdhsa_exception_fp_denorm_src 0
		.amdhsa_exception_fp_ieee_div_zero 0
		.amdhsa_exception_fp_ieee_overflow 0
		.amdhsa_exception_fp_ieee_underflow 0
		.amdhsa_exception_fp_ieee_inexact 0
		.amdhsa_exception_int_div_zero 0
	.end_amdhsa_kernel
	.section	.text._Z14LLGemm1_kernelIN3c104HalfELi4EEvPKT_S4_PS2_i,"axG",@progbits,_Z14LLGemm1_kernelIN3c104HalfELi4EEvPKT_S4_PS2_i,comdat
.Lfunc_end1:
	.size	_Z14LLGemm1_kernelIN3c104HalfELi4EEvPKT_S4_PS2_i, .Lfunc_end1-_Z14LLGemm1_kernelIN3c104HalfELi4EEvPKT_S4_PS2_i
                                        ; -- End function
	.section	.AMDGPU.csdata,"",@progbits
; Kernel info:
; codeLenInByte = 1272
; NumSgprs: 20
; NumVgprs: 22
; NumAgprs: 0
; TotalNumVgprs: 22
; ScratchSize: 0
; MemoryBound: 0
; FloatMode: 240
; IeeeMode: 1
; LDSByteSize: 1024 bytes/workgroup (compile time only)
; SGPRBlocks: 2
; VGPRBlocks: 2
; NumSGPRsForWavesPerEU: 20
; NumVGPRsForWavesPerEU: 22
; AccumOffset: 24
; Occupancy: 8
; WaveLimiterHint : 0
; COMPUTE_PGM_RSRC2:SCRATCH_EN: 0
; COMPUTE_PGM_RSRC2:USER_SGPR: 2
; COMPUTE_PGM_RSRC2:TRAP_HANDLER: 0
; COMPUTE_PGM_RSRC2:TGID_X_EN: 1
; COMPUTE_PGM_RSRC2:TGID_Y_EN: 0
; COMPUTE_PGM_RSRC2:TGID_Z_EN: 0
; COMPUTE_PGM_RSRC2:TIDIG_COMP_CNT: 0
; COMPUTE_PGM_RSRC3_GFX90A:ACCUM_OFFSET: 5
; COMPUTE_PGM_RSRC3_GFX90A:TG_SPLIT: 0
	.section	.text._Z14LLGemm1_kernelIN3c104HalfELi8EEvPKT_S4_PS2_i,"axG",@progbits,_Z14LLGemm1_kernelIN3c104HalfELi8EEvPKT_S4_PS2_i,comdat
	.protected	_Z14LLGemm1_kernelIN3c104HalfELi8EEvPKT_S4_PS2_i ; -- Begin function _Z14LLGemm1_kernelIN3c104HalfELi8EEvPKT_S4_PS2_i
	.globl	_Z14LLGemm1_kernelIN3c104HalfELi8EEvPKT_S4_PS2_i
	.p2align	8
	.type	_Z14LLGemm1_kernelIN3c104HalfELi8EEvPKT_S4_PS2_i,@function
_Z14LLGemm1_kernelIN3c104HalfELi8EEvPKT_S4_PS2_i: ; @_Z14LLGemm1_kernelIN3c104HalfELi8EEvPKT_S4_PS2_i
; %bb.0:
	s_load_dword s3, s[0:1], 0x18
	s_load_dwordx4 s[4:7], s[0:1], 0x0
	s_load_dwordx2 s[8:9], s[0:1], 0x10
	v_lshlrev_b32_e32 v1, 3, v0
                                        ; implicit-def: $vgpr9
                                        ; implicit-def: $vgpr2
                                        ; implicit-def: $vgpr18
                                        ; implicit-def: $vgpr10
                                        ; implicit-def: $vgpr26
                                        ; implicit-def: $vgpr14
                                        ; implicit-def: $vgpr30
                                        ; implicit-def: $vgpr22
                                        ; implicit-def: $vgpr34
	s_waitcnt lgkmcnt(0)
	v_cmp_gt_i32_e32 vcc, s3, v1
	s_and_saveexec_b64 s[10:11], vcc
	s_cbranch_execz .LBB2_2
; %bb.1:
	s_mul_i32 s12, s2, s3
	s_and_b32 s12, s12, 0x1fffffff
	v_add_u32_e32 v2, s12, v0
	s_lshr_b32 s12, s3, 3
	v_mov_b32_e32 v3, 0
	s_add_i32 s3, s12, s12
	s_mov_b32 s13, 0
	v_lshl_add_u64 v[4:5], v[2:3], 4, s[4:5]
	v_add_u32_e32 v2, s3, v2
	v_lshl_add_u64 v[6:7], s[12:13], 4, v[4:5]
	global_load_dwordx4 v[34:37], v[4:5], off nt
	global_load_dwordx4 v[22:25], v[6:7], off nt
	v_lshl_add_u64 v[4:5], v[2:3], 4, s[4:5]
	v_add_u32_e32 v2, s12, v2
	v_lshl_add_u64 v[6:7], v[2:3], 4, s[4:5]
	v_add_u32_e32 v2, s12, v2
	global_load_dwordx4 v[30:33], v[4:5], off nt
	global_load_dwordx4 v[14:17], v[6:7], off nt
	v_lshl_add_u64 v[4:5], v[2:3], 4, s[4:5]
	v_add_u32_e32 v2, s12, v2
	v_lshl_add_u64 v[6:7], v[2:3], 4, s[4:5]
	v_add_u32_e32 v2, s12, v2
	global_load_dwordx4 v[26:29], v[4:5], off nt
	global_load_dwordx4 v[10:13], v[6:7], off nt
	v_lshl_add_u64 v[6:7], v[2:3], 4, s[4:5]
	v_add_u32_e32 v2, s12, v2
	v_lshl_add_u64 v[8:9], v[2:3], 4, s[4:5]
	v_lshlrev_b32_e32 v1, 4, v0
	global_load_dwordx4 v[18:21], v[6:7], off nt
	global_load_dwordx4 v[2:5], v[8:9], off nt
	s_nop 0
	global_load_dwordx4 v[6:9], v1, s[6:7]
.LBB2_2:
	s_or_b64 exec, exec, s[10:11]
	s_waitcnt vmcnt(0)
	v_pk_mul_f16 v1, v6, v34
	s_nop 0
	v_pk_fma_f16 v1, v35, v7, v1
	s_nop 0
	v_pk_fma_f16 v1, v36, v8, v1
	s_nop 0
	v_pk_fma_f16 v34, v37, v9, v1
	v_pk_mul_f16 v1, v6, v22
	s_nop 0
	v_pk_fma_f16 v1, v23, v7, v1
	s_nop 0
	v_pk_fma_f16 v1, v24, v8, v1
	s_nop 0
	v_pk_fma_f16 v22, v25, v9, v1
	;; [unrolled: 7-line block ×6, first 2 shown]
	v_pk_mul_f16 v1, v6, v18
	v_cvt_f32_f16_e32 v11, v12
	v_pk_fma_f16 v1, v19, v7, v1
	v_cvt_f32_f16_sdwa v13, v12 dst_sel:DWORD dst_unused:UNUSED_PAD src0_sel:WORD_1
	v_pk_fma_f16 v1, v20, v8, v1
	v_cvt_f32_f16_sdwa v12, v15 dst_sel:DWORD dst_unused:UNUSED_PAD src0_sel:WORD_1
	v_pk_fma_f16 v16, v21, v9, v1
	v_pk_mul_f16 v1, v6, v2
	v_cvt_f32_f16_e32 v2, v34
	v_pk_fma_f16 v1, v3, v7, v1
	v_cvt_f32_f16_e32 v7, v14
	v_pk_fma_f16 v1, v4, v8, v1
	v_cvt_f32_f16_sdwa v8, v23 dst_sel:DWORD dst_unused:UNUSED_PAD src0_sel:WORD_1
	v_pk_fma_f16 v17, v5, v9, v1
	v_mbcnt_lo_u32_b32 v1, -1, 0
	v_mbcnt_hi_u32_b32 v21, -1, v1
	v_and_b32_e32 v1, 64, v21
	v_add_u32_e32 v24, 64, v1
	v_xor_b32_e32 v1, 32, v21
	v_cmp_lt_i32_e64 s[4:5], v1, v24
	v_xor_b32_e32 v6, 8, v21
	v_cvt_f32_f16_sdwa v9, v14 dst_sel:DWORD dst_unused:UNUSED_PAD src0_sel:WORD_1
	v_cndmask_b32_e64 v1, v21, v1, s[4:5]
	v_lshlrev_b32_e32 v25, 2, v1
	v_xor_b32_e32 v1, 16, v21
	v_cmp_lt_i32_e64 s[4:5], v1, v24
	v_xor_b32_e32 v10, 2, v21
	v_cvt_f32_f16_e32 v3, v22
	v_cndmask_b32_e64 v1, v21, v1, s[4:5]
	v_cmp_lt_i32_e64 s[4:5], v6, v24
	v_lshlrev_b32_e32 v1, 2, v1
	v_cvt_f32_f16_sdwa v5, v22 dst_sel:DWORD dst_unused:UNUSED_PAD src0_sel:WORD_1
	v_cndmask_b32_e64 v6, v21, v6, s[4:5]
	v_lshlrev_b32_e32 v18, 2, v6
	v_xor_b32_e32 v6, 4, v21
	v_cmp_lt_i32_e64 s[4:5], v6, v24
	v_cvt_f32_f16_sdwa v4, v34 dst_sel:DWORD dst_unused:UNUSED_PAD src0_sel:WORD_1
	v_cvt_f32_f16_sdwa v14, v16 dst_sel:DWORD dst_unused:UNUSED_PAD src0_sel:WORD_1
	v_cndmask_b32_e64 v6, v21, v6, s[4:5]
	v_lshlrev_b32_e32 v19, 2, v6
	v_cvt_f32_f16_e32 v6, v23
	v_cmp_lt_i32_e64 s[4:5], v10, v24
	v_pk_add_f32 v[2:3], v[2:3], v[4:5]
	v_pk_add_f32 v[6:7], v[6:7], v[8:9]
	s_nop 0
	v_cndmask_b32_e32 v7, 0, v7, vcc
	v_cndmask_b32_e32 v6, 0, v6, vcc
	ds_bpermute_b32 v8, v25, v6
	ds_bpermute_b32 v9, v25, v7
	v_cndmask_b32_e64 v10, v21, v10, s[4:5]
	v_lshlrev_b32_e32 v20, 2, v10
	v_cvt_f32_f16_e32 v10, v15
	v_cvt_f32_f16_sdwa v15, v17 dst_sel:DWORD dst_unused:UNUSED_PAD src0_sel:WORD_1
	s_waitcnt lgkmcnt(0)
	v_pk_add_f32 v[6:7], v[6:7], v[8:9]
	ds_bpermute_b32 v8, v1, v6
	ds_bpermute_b32 v9, v1, v7
	v_pk_add_f32 v[10:11], v[10:11], v[12:13]
	v_cvt_f32_f16_e32 v13, v17
	v_cvt_f32_f16_e32 v12, v16
	v_cndmask_b32_e32 v3, 0, v3, vcc
	v_cndmask_b32_e32 v2, 0, v2, vcc
	s_waitcnt lgkmcnt(0)
	v_pk_add_f32 v[6:7], v[6:7], v[8:9]
	v_cndmask_b32_e32 v11, 0, v11, vcc
	v_cndmask_b32_e32 v10, 0, v10, vcc
	ds_bpermute_b32 v4, v25, v2
	ds_bpermute_b32 v5, v25, v3
	;; [unrolled: 1-line block ×6, first 2 shown]
	v_pk_add_f32 v[12:13], v[12:13], v[14:15]
	s_waitcnt lgkmcnt(4)
	v_pk_add_f32 v[2:3], v[2:3], v[4:5]
	v_cndmask_b32_e32 v13, 0, v13, vcc
	v_cndmask_b32_e32 v12, 0, v12, vcc
	ds_bpermute_b32 v14, v25, v12
	ds_bpermute_b32 v15, v25, v13
	s_waitcnt lgkmcnt(4)
	v_pk_add_f32 v[6:7], v[6:7], v[8:9]
	s_waitcnt lgkmcnt(2)
	v_pk_add_f32 v[10:11], v[10:11], v[16:17]
	ds_bpermute_b32 v4, v1, v2
	ds_bpermute_b32 v5, v1, v3
	;; [unrolled: 1-line block ×6, first 2 shown]
	s_waitcnt lgkmcnt(6)
	v_pk_add_f32 v[12:13], v[12:13], v[14:15]
	ds_bpermute_b32 v14, v1, v12
	ds_bpermute_b32 v15, v1, v13
	s_waitcnt lgkmcnt(6)
	v_pk_add_f32 v[2:3], v[2:3], v[4:5]
	s_waitcnt lgkmcnt(4)
	v_pk_add_f32 v[6:7], v[6:7], v[8:9]
	;; [unrolled: 2-line block ×3, first 2 shown]
	ds_bpermute_b32 v4, v18, v2
	ds_bpermute_b32 v5, v18, v3
	;; [unrolled: 1-line block ×4, first 2 shown]
	s_waitcnt lgkmcnt(4)
	v_pk_add_f32 v[12:13], v[12:13], v[14:15]
	ds_bpermute_b32 v14, v18, v12
	ds_bpermute_b32 v15, v18, v13
	s_waitcnt lgkmcnt(4)
	v_pk_add_f32 v[2:3], v[2:3], v[4:5]
	s_waitcnt lgkmcnt(2)
	v_pk_add_f32 v[8:9], v[8:9], v[10:11]
	ds_bpermute_b32 v4, v19, v2
	ds_bpermute_b32 v5, v19, v3
	;; [unrolled: 1-line block ×4, first 2 shown]
	s_waitcnt lgkmcnt(4)
	v_pk_add_f32 v[12:13], v[12:13], v[14:15]
	ds_bpermute_b32 v14, v19, v12
	ds_bpermute_b32 v15, v19, v13
	s_waitcnt lgkmcnt(4)
	v_pk_add_f32 v[2:3], v[2:3], v[4:5]
	s_waitcnt lgkmcnt(2)
	v_pk_add_f32 v[10:11], v[8:9], v[10:11]
	ds_bpermute_b32 v4, v20, v2
	ds_bpermute_b32 v5, v20, v3
	;; [unrolled: 1-line block ×4, first 2 shown]
	s_waitcnt lgkmcnt(4)
	v_pk_add_f32 v[12:13], v[12:13], v[14:15]
	ds_bpermute_b32 v16, v20, v6
	ds_bpermute_b32 v17, v20, v7
	;; [unrolled: 1-line block ×4, first 2 shown]
	s_waitcnt lgkmcnt(6)
	v_pk_add_f32 v[8:9], v[2:3], v[4:5]
	s_waitcnt lgkmcnt(4)
	v_pk_add_f32 v[2:3], v[10:11], v[22:23]
	v_xor_b32_e32 v10, 1, v21
	v_cmp_lt_i32_e32 vcc, v10, v24
	s_waitcnt lgkmcnt(2)
	v_pk_add_f32 v[4:5], v[6:7], v[16:17]
	s_waitcnt lgkmcnt(0)
	v_pk_add_f32 v[6:7], v[12:13], v[14:15]
	v_cndmask_b32_e32 v10, v21, v10, vcc
	v_lshlrev_b32_e32 v21, 2, v10
	ds_bpermute_b32 v16, v21, v8
	ds_bpermute_b32 v17, v21, v9
	;; [unrolled: 1-line block ×8, first 2 shown]
	v_and_b32_e32 v22, 63, v0
	v_cmp_gt_u32_e32 vcc, 8, v22
	s_and_saveexec_b64 s[4:5], vcc
	s_cbranch_execz .LBB2_4
; %bb.3:
	s_waitcnt lgkmcnt(6)
	v_pk_add_f32 v[8:9], v[8:9], v[16:17]
	v_cmp_eq_u32_e32 vcc, 1, v22
	s_waitcnt lgkmcnt(4)
	v_pk_add_f32 v[4:5], v[4:5], v[12:13]
	s_waitcnt lgkmcnt(2)
	v_pk_add_f32 v[2:3], v[2:3], v[10:11]
	v_cndmask_b32_e32 v8, v8, v9, vcc
	v_cmp_eq_u32_e32 vcc, 2, v22
	s_waitcnt lgkmcnt(0)
	v_pk_add_f32 v[6:7], v[6:7], v[14:15]
	v_lshrrev_b32_e32 v10, 4, v0
	v_cndmask_b32_e32 v4, v8, v4, vcc
	v_cmp_eq_u32_e32 vcc, 3, v22
	v_and_b32_e32 v10, 60, v10
	v_lshl_or_b32 v10, v22, 8, v10
	v_cndmask_b32_e32 v4, v4, v5, vcc
	v_cmp_eq_u32_e32 vcc, 4, v22
	s_nop 1
	v_cndmask_b32_e32 v2, v4, v2, vcc
	v_cmp_eq_u32_e32 vcc, 5, v22
	s_nop 1
	;; [unrolled: 3-line block ×4, first 2 shown]
	v_cndmask_b32_e32 v2, v2, v7, vcc
	ds_write_b32 v10, v2
.LBB2_4:
	s_or_b64 exec, exec, s[4:5]
	s_movk_i32 s3, 0x80
	v_cmp_gt_u32_e32 vcc, s3, v0
	s_waitcnt lgkmcnt(0)
	s_barrier
	s_and_saveexec_b64 s[4:5], vcc
	s_cbranch_execz .LBB2_9
; %bb.5:
	s_load_dword s0, s[0:1], 0x2c
	v_and_b32_e32 v3, 15, v0
	v_mov_b32_e32 v2, 0
	s_waitcnt lgkmcnt(0)
	s_and_b32 s0, 0xffff, s0
	s_lshr_b32 s0, s0, 6
	v_cmp_gt_u32_e32 vcc, s0, v3
	s_and_saveexec_b64 s[0:1], vcc
	s_cbranch_execz .LBB2_7
; %bb.6:
	v_lshlrev_b32_e32 v2, 2, v3
	v_lshlrev_b32_e32 v3, 4, v0
	s_movk_i32 s3, 0x3f00
	v_and_or_b32 v2, v3, s3, v2
	ds_read_b32 v2, v2
.LBB2_7:
	s_or_b64 exec, exec, s[0:1]
	s_waitcnt lgkmcnt(0)
	ds_bpermute_b32 v3, v18, v2
	s_waitcnt lgkmcnt(0)
	v_add_f32_e32 v2, v2, v3
	ds_bpermute_b32 v3, v19, v2
	s_waitcnt lgkmcnt(0)
	v_add_f32_e32 v2, v2, v3
	;; [unrolled: 3-line block ×4, first 2 shown]
	ds_bpermute_b32 v1, v1, v2
	v_and_b32_e32 v3, 31, v0
	v_cmp_eq_u32_e32 vcc, 0, v3
	s_and_b64 exec, exec, vcc
	s_cbranch_execz .LBB2_9
; %bb.8:
	v_cvt_f16_f32_e32 v4, v2
	s_waitcnt lgkmcnt(0)
	v_cvt_f16_f32_e32 v1, v1
	s_lshl_b32 s0, s2, 2
	s_and_b32 s0, s0, 0x7ffffffc
	v_lshrrev_b32_e32 v0, 5, v0
	v_mov_b32_e32 v2, s8
	v_mov_b32_e32 v3, s9
	v_pack_b32_f16 v4, v4, v1
	v_or_b32_e32 v0, s0, v0
	v_mov_b32_e32 v1, 0
	v_lshl_add_u64 v[0:1], v[0:1], 2, v[2:3]
	global_store_dword v[0:1], v4, off
.LBB2_9:
	s_endpgm
	.section	.rodata,"a",@progbits
	.p2align	6, 0x0
	.amdhsa_kernel _Z14LLGemm1_kernelIN3c104HalfELi8EEvPKT_S4_PS2_i
		.amdhsa_group_segment_fixed_size 2048
		.amdhsa_private_segment_fixed_size 0
		.amdhsa_kernarg_size 288
		.amdhsa_user_sgpr_count 2
		.amdhsa_user_sgpr_dispatch_ptr 0
		.amdhsa_user_sgpr_queue_ptr 0
		.amdhsa_user_sgpr_kernarg_segment_ptr 1
		.amdhsa_user_sgpr_dispatch_id 0
		.amdhsa_user_sgpr_kernarg_preload_length 0
		.amdhsa_user_sgpr_kernarg_preload_offset 0
		.amdhsa_user_sgpr_private_segment_size 0
		.amdhsa_uses_dynamic_stack 0
		.amdhsa_enable_private_segment 0
		.amdhsa_system_sgpr_workgroup_id_x 1
		.amdhsa_system_sgpr_workgroup_id_y 0
		.amdhsa_system_sgpr_workgroup_id_z 0
		.amdhsa_system_sgpr_workgroup_info 0
		.amdhsa_system_vgpr_workitem_id 0
		.amdhsa_next_free_vgpr 38
		.amdhsa_next_free_sgpr 14
		.amdhsa_accum_offset 40
		.amdhsa_reserve_vcc 1
		.amdhsa_float_round_mode_32 0
		.amdhsa_float_round_mode_16_64 0
		.amdhsa_float_denorm_mode_32 3
		.amdhsa_float_denorm_mode_16_64 3
		.amdhsa_dx10_clamp 1
		.amdhsa_ieee_mode 1
		.amdhsa_fp16_overflow 0
		.amdhsa_tg_split 0
		.amdhsa_exception_fp_ieee_invalid_op 0
		.amdhsa_exception_fp_denorm_src 0
		.amdhsa_exception_fp_ieee_div_zero 0
		.amdhsa_exception_fp_ieee_overflow 0
		.amdhsa_exception_fp_ieee_underflow 0
		.amdhsa_exception_fp_ieee_inexact 0
		.amdhsa_exception_int_div_zero 0
	.end_amdhsa_kernel
	.section	.text._Z14LLGemm1_kernelIN3c104HalfELi8EEvPKT_S4_PS2_i,"axG",@progbits,_Z14LLGemm1_kernelIN3c104HalfELi8EEvPKT_S4_PS2_i,comdat
.Lfunc_end2:
	.size	_Z14LLGemm1_kernelIN3c104HalfELi8EEvPKT_S4_PS2_i, .Lfunc_end2-_Z14LLGemm1_kernelIN3c104HalfELi8EEvPKT_S4_PS2_i
                                        ; -- End function
	.section	.AMDGPU.csdata,"",@progbits
; Kernel info:
; codeLenInByte = 1956
; NumSgprs: 20
; NumVgprs: 38
; NumAgprs: 0
; TotalNumVgprs: 38
; ScratchSize: 0
; MemoryBound: 0
; FloatMode: 240
; IeeeMode: 1
; LDSByteSize: 2048 bytes/workgroup (compile time only)
; SGPRBlocks: 2
; VGPRBlocks: 4
; NumSGPRsForWavesPerEU: 20
; NumVGPRsForWavesPerEU: 38
; AccumOffset: 40
; Occupancy: 8
; WaveLimiterHint : 0
; COMPUTE_PGM_RSRC2:SCRATCH_EN: 0
; COMPUTE_PGM_RSRC2:USER_SGPR: 2
; COMPUTE_PGM_RSRC2:TRAP_HANDLER: 0
; COMPUTE_PGM_RSRC2:TGID_X_EN: 1
; COMPUTE_PGM_RSRC2:TGID_Y_EN: 0
; COMPUTE_PGM_RSRC2:TGID_Z_EN: 0
; COMPUTE_PGM_RSRC2:TIDIG_COMP_CNT: 0
; COMPUTE_PGM_RSRC3_GFX90A:ACCUM_OFFSET: 9
; COMPUTE_PGM_RSRC3_GFX90A:TG_SPLIT: 0
	.section	.text._Z14LLGemm1_kernelIN3c104HalfELi16EEvPKT_S4_PS2_i,"axG",@progbits,_Z14LLGemm1_kernelIN3c104HalfELi16EEvPKT_S4_PS2_i,comdat
	.protected	_Z14LLGemm1_kernelIN3c104HalfELi16EEvPKT_S4_PS2_i ; -- Begin function _Z14LLGemm1_kernelIN3c104HalfELi16EEvPKT_S4_PS2_i
	.globl	_Z14LLGemm1_kernelIN3c104HalfELi16EEvPKT_S4_PS2_i
	.p2align	8
	.type	_Z14LLGemm1_kernelIN3c104HalfELi16EEvPKT_S4_PS2_i,@function
_Z14LLGemm1_kernelIN3c104HalfELi16EEvPKT_S4_PS2_i: ; @_Z14LLGemm1_kernelIN3c104HalfELi16EEvPKT_S4_PS2_i
; %bb.0:
	s_load_dword s3, s[0:1], 0x18
	s_load_dwordx4 s[4:7], s[0:1], 0x0
	s_load_dwordx2 s[8:9], s[0:1], 0x10
	v_lshlrev_b32_e32 v1, 3, v0
                                        ; implicit-def: $vgpr5
                                        ; implicit-def: $vgpr6
                                        ; implicit-def: $vgpr14
                                        ; implicit-def: $vgpr34
                                        ; implicit-def: $vgpr54
                                        ; implicit-def: $vgpr62
                                        ; implicit-def: $vgpr66
                                        ; implicit-def: $vgpr10
                                        ; implicit-def: $vgpr26
                                        ; implicit-def: $vgpr18
                                        ; implicit-def: $vgpr38
                                        ; implicit-def: $vgpr22
                                        ; implicit-def: $vgpr46
                                        ; implicit-def: $vgpr30
                                        ; implicit-def: $vgpr50
                                        ; implicit-def: $vgpr42
                                        ; implicit-def: $vgpr58
	s_waitcnt lgkmcnt(0)
	v_cmp_gt_i32_e32 vcc, s3, v1
	s_and_saveexec_b64 s[10:11], vcc
	s_cbranch_execz .LBB3_2
; %bb.1:
	s_mul_i32 s12, s2, s3
	s_lshl_b32 s12, s12, 1
	s_and_b32 s12, s12, 0x1ffffffe
	v_add_u32_e32 v2, s12, v0
	v_mov_b32_e32 v3, 0
	s_lshr_b32 s12, s3, 3
	s_mov_b32 s13, 0
	v_lshl_add_u64 v[4:5], v[2:3], 4, s[4:5]
	v_lshl_add_u64 v[6:7], s[12:13], 4, v[4:5]
	s_add_i32 s13, s12, s12
	global_load_dwordx4 v[58:61], v[4:5], off nt
	global_load_dwordx4 v[42:45], v[6:7], off nt
	v_add_u32_e32 v4, s13, v2
	v_mov_b32_e32 v5, v3
	v_lshl_add_u64 v[6:7], v[4:5], 4, s[4:5]
	v_add_u32_e32 v4, s12, v4
	v_lshl_add_u64 v[8:9], v[4:5], 4, s[4:5]
	v_add_u32_e32 v4, s12, v4
	global_load_dwordx4 v[50:53], v[6:7], off nt
	global_load_dwordx4 v[30:33], v[8:9], off nt
	v_lshl_add_u64 v[6:7], v[4:5], 4, s[4:5]
	v_add_u32_e32 v4, s12, v4
	v_lshl_add_u64 v[8:9], v[4:5], 4, s[4:5]
	v_add_u32_e32 v4, s12, v4
	s_and_b32 s3, s3, -8
	global_load_dwordx4 v[46:49], v[6:7], off nt
	global_load_dwordx4 v[22:25], v[8:9], off nt
	v_lshl_add_u64 v[6:7], v[4:5], 4, s[4:5]
	v_add_u32_e32 v4, s12, v4
	v_add_u32_e32 v2, s3, v2
	v_lshl_add_u64 v[8:9], v[4:5], 4, s[4:5]
	global_load_dwordx4 v[38:41], v[6:7], off nt
	global_load_dwordx4 v[18:21], v[8:9], off nt
	v_lshl_add_u64 v[6:7], v[2:3], 4, s[4:5]
	v_lshl_add_u32 v2, s12, 1, v4
	v_lshl_add_u64 v[4:5], v[2:3], 4, s[4:5]
	v_add_u32_e32 v2, s12, v2
	global_load_dwordx4 v[26:29], v[6:7], off nt
	global_load_dwordx4 v[10:13], v[4:5], off nt
	v_lshl_add_u64 v[4:5], v[2:3], 4, s[4:5]
	v_add_u32_e32 v2, s12, v2
	v_lshl_add_u64 v[6:7], v[2:3], 4, s[4:5]
	v_add_u32_e32 v2, s12, v2
	v_lshl_add_u64 v[8:9], v[2:3], 4, s[4:5]
	v_add_u32_e32 v2, s12, v2
	v_lshl_add_u64 v[14:15], v[2:3], 4, s[4:5]
	v_add_u32_e32 v2, s12, v2
	v_lshl_add_u64 v[16:17], v[2:3], 4, s[4:5]
	v_add_u32_e32 v2, s12, v2
	v_lshl_add_u64 v[2:3], v[2:3], 4, s[4:5]
	v_lshlrev_b32_e32 v1, 4, v0
	global_load_dwordx4 v[66:69], v[4:5], off nt
	global_load_dwordx4 v[62:65], v[6:7], off nt
                                        ; kill: killed $vgpr4_vgpr5
                                        ; kill: killed $vgpr6_vgpr7
	global_load_dwordx4 v[54:57], v[8:9], off nt
	global_load_dwordx4 v[34:37], v[14:15], off nt
	s_nop 0
	global_load_dwordx4 v[14:17], v[16:17], off nt
	s_nop 0
	;; [unrolled: 2-line block ×3, first 2 shown]
	global_load_dwordx4 v[2:5], v1, s[6:7]
.LBB3_2:
	s_or_b64 exec, exec, s[10:11]
	s_waitcnt vmcnt(0)
	v_pk_mul_f16 v18, v2, v18
	v_pk_mul_f16 v10, v2, v10
	v_pk_fma_f16 v18, v19, v3, v18
	v_pk_fma_f16 v10, v11, v3, v10
	;; [unrolled: 1-line block ×5, first 2 shown]
	v_pk_mul_f16 v18, v2, v26
	v_pk_mul_f16 v42, v2, v42
	v_pk_fma_f16 v18, v27, v3, v18
	v_pk_fma_f16 v27, v13, v5, v10
	v_pk_mul_f16 v10, v2, v66
	v_pk_mul_f16 v30, v2, v30
	v_pk_fma_f16 v10, v67, v3, v10
	v_pk_mul_f16 v22, v2, v22
	v_pk_fma_f16 v10, v68, v4, v10
	;; [unrolled: 2-line block ×4, first 2 shown]
	v_pk_fma_f16 v10, v63, v3, v10
	v_pk_mul_f16 v43, v2, v50
	v_pk_fma_f16 v10, v64, v4, v10
	v_pk_fma_f16 v30, v31, v3, v30
	;; [unrolled: 1-line block ×3, first 2 shown]
	v_pk_mul_f16 v10, v2, v54
	v_pk_mul_f16 v31, v2, v46
	v_pk_fma_f16 v10, v55, v3, v10
	v_pk_fma_f16 v22, v23, v3, v22
	;; [unrolled: 1-line block ×3, first 2 shown]
	v_pk_mul_f16 v23, v2, v38
	v_pk_fma_f16 v11, v57, v5, v10
	v_pk_mul_f16 v10, v2, v34
	v_pk_fma_f16 v18, v28, v4, v18
	v_pk_fma_f16 v10, v35, v3, v10
	;; [unrolled: 1-line block ×6, first 2 shown]
	v_pk_mul_f16 v10, v2, v14
	v_pk_mul_f16 v2, v2, v6
	v_pk_fma_f16 v1, v60, v4, v1
	v_pk_fma_f16 v2, v7, v3, v2
	;; [unrolled: 1-line block ×6, first 2 shown]
	v_mbcnt_lo_u32_b32 v2, -1, 0
	v_mbcnt_hi_u32_b32 v18, -1, v2
	v_and_b32_e32 v2, 64, v18
	v_add_u32_e32 v19, 64, v2
	v_xor_b32_e32 v2, 32, v18
	v_pk_fma_f16 v31, v47, v3, v31
	v_pk_fma_f16 v23, v39, v3, v23
	;; [unrolled: 1-line block ×3, first 2 shown]
	v_cmp_lt_i32_e64 s[4:5], v2, v19
	v_xor_b32_e32 v6, 16, v18
	v_pk_fma_f16 v1, v61, v5, v1
	v_pk_fma_f16 v42, v45, v5, v42
	;; [unrolled: 1-line block ×8, first 2 shown]
	v_cndmask_b32_e64 v2, v18, v2, s[4:5]
	v_cmp_lt_i32_e64 s[4:5], v6, v19
	v_pk_fma_f16 v43, v53, v5, v43
	v_pk_fma_f16 v30, v33, v5, v30
	;; [unrolled: 1-line block ×6, first 2 shown]
	v_lshlrev_b32_e32 v8, 2, v2
	v_cvt_f32_f16_e32 v3, v42
	v_cvt_f32_f16_e32 v2, v1
	v_cvt_f32_f16_sdwa v5, v42 dst_sel:DWORD dst_unused:UNUSED_PAD src0_sel:WORD_1
	v_cvt_f32_f16_sdwa v4, v1 dst_sel:DWORD dst_unused:UNUSED_PAD src0_sel:WORD_1
	v_cndmask_b32_e64 v1, v18, v6, s[4:5]
	v_xor_b32_e32 v6, 8, v18
	v_cmp_lt_i32_e64 s[4:5], v6, v19
	v_pk_add_f32 v[2:3], v[2:3], v[4:5]
	v_cvt_f32_f16_e32 v7, v30
	v_cndmask_b32_e64 v6, v18, v6, s[4:5]
	v_lshlrev_b32_e32 v34, 2, v6
	v_xor_b32_e32 v6, 4, v18
	v_cmp_lt_i32_e64 s[4:5], v6, v19
	v_cndmask_b32_e32 v3, 0, v3, vcc
	v_cndmask_b32_e32 v2, 0, v2, vcc
	v_cndmask_b32_e64 v6, v18, v6, s[4:5]
	ds_bpermute_b32 v4, v8, v2
	ds_bpermute_b32 v5, v8, v3
	v_lshlrev_b32_e32 v35, 2, v6
	v_cvt_f32_f16_e32 v6, v43
	v_cvt_f32_f16_sdwa v15, v30 dst_sel:DWORD dst_unused:UNUSED_PAD src0_sel:WORD_1
	v_cvt_f32_f16_sdwa v14, v43 dst_sel:DWORD dst_unused:UNUSED_PAD src0_sel:WORD_1
	v_lshlrev_b32_e32 v1, 2, v1
	s_waitcnt lgkmcnt(0)
	v_pk_add_f32 v[2:3], v[2:3], v[4:5]
	ds_bpermute_b32 v4, v1, v2
	v_pk_add_f32 v[6:7], v[6:7], v[14:15]
	ds_bpermute_b32 v5, v1, v3
	v_cndmask_b32_e32 v7, 0, v7, vcc
	v_cndmask_b32_e32 v6, 0, v6, vcc
	ds_bpermute_b32 v14, v8, v6
	ds_bpermute_b32 v15, v8, v7
	v_xor_b32_e32 v16, 2, v18
	v_cmp_lt_i32_e64 s[4:5], v16, v19
	s_waitcnt lgkmcnt(2)
	v_pk_add_f32 v[2:3], v[2:3], v[4:5]
	ds_bpermute_b32 v4, v34, v2
	v_cndmask_b32_e64 v16, v18, v16, s[4:5]
	s_waitcnt lgkmcnt(1)
	v_pk_add_f32 v[6:7], v[6:7], v[14:15]
	ds_bpermute_b32 v5, v34, v3
	v_lshlrev_b32_e32 v36, 2, v16
	ds_bpermute_b32 v14, v1, v6
	ds_bpermute_b32 v15, v1, v7
	v_cvt_f32_f16_e32 v17, v22
	v_cvt_f32_f16_e32 v16, v31
	v_cvt_f32_f16_sdwa v23, v22 dst_sel:DWORD dst_unused:UNUSED_PAD src0_sel:WORD_1
	v_cvt_f32_f16_sdwa v22, v31 dst_sel:DWORD dst_unused:UNUSED_PAD src0_sel:WORD_1
	s_waitcnt lgkmcnt(2)
	v_pk_add_f32 v[2:3], v[2:3], v[4:5]
	s_waitcnt lgkmcnt(0)
	v_pk_add_f32 v[6:7], v[6:7], v[14:15]
	ds_bpermute_b32 v4, v35, v2
	v_pk_add_f32 v[16:17], v[16:17], v[22:23]
	ds_bpermute_b32 v5, v35, v3
	v_cndmask_b32_e32 v17, 0, v17, vcc
	v_cndmask_b32_e32 v16, 0, v16, vcc
	ds_bpermute_b32 v14, v34, v6
	ds_bpermute_b32 v15, v34, v7
	;; [unrolled: 1-line block ×4, first 2 shown]
	s_waitcnt lgkmcnt(4)
	v_pk_add_f32 v[2:3], v[2:3], v[4:5]
	ds_bpermute_b32 v4, v36, v2
	s_waitcnt lgkmcnt(3)
	v_pk_add_f32 v[6:7], v[6:7], v[14:15]
	ds_bpermute_b32 v5, v36, v3
	;; [unrolled: 3-line block ×3, first 2 shown]
	ds_bpermute_b32 v15, v35, v7
	ds_bpermute_b32 v22, v1, v16
	;; [unrolled: 1-line block ×3, first 2 shown]
	s_waitcnt lgkmcnt(4)
	v_pk_add_f32 v[2:3], v[2:3], v[4:5]
	v_cvt_f32_f16_sdwa v25, v21 dst_sel:DWORD dst_unused:UNUSED_PAD src0_sel:WORD_1
	s_waitcnt lgkmcnt(2)
	v_pk_add_f32 v[4:5], v[6:7], v[14:15]
	ds_bpermute_b32 v6, v36, v4
	s_waitcnt lgkmcnt(1)
	v_pk_add_f32 v[14:15], v[16:17], v[22:23]
	ds_bpermute_b32 v16, v34, v14
	ds_bpermute_b32 v17, v34, v15
	v_cvt_f32_f16_e32 v23, v21
	v_cvt_f32_f16_e32 v22, v24
	v_cvt_f32_f16_sdwa v24, v24 dst_sel:DWORD dst_unused:UNUSED_PAD src0_sel:WORD_1
	ds_bpermute_b32 v7, v36, v5
	s_waitcnt lgkmcnt(1)
	v_pk_add_f32 v[14:15], v[14:15], v[16:17]
	ds_bpermute_b32 v16, v35, v14
	v_pk_add_f32 v[22:23], v[22:23], v[24:25]
	ds_bpermute_b32 v17, v35, v15
	v_cndmask_b32_e32 v23, 0, v23, vcc
	v_cndmask_b32_e32 v22, 0, v22, vcc
	ds_bpermute_b32 v24, v8, v22
	ds_bpermute_b32 v25, v8, v23
	s_waitcnt lgkmcnt(4)
	v_pk_add_f32 v[4:5], v[4:5], v[6:7]
	s_waitcnt lgkmcnt(2)
	v_pk_add_f32 v[6:7], v[14:15], v[16:17]
	ds_bpermute_b32 v14, v36, v6
	ds_bpermute_b32 v15, v36, v7
	s_waitcnt lgkmcnt(2)
	v_pk_add_f32 v[16:17], v[22:23], v[24:25]
	ds_bpermute_b32 v22, v1, v16
	ds_bpermute_b32 v23, v1, v17
	v_cvt_f32_f16_e32 v25, v27
	v_cvt_f32_f16_e32 v24, v26
	v_cvt_f32_f16_sdwa v27, v27 dst_sel:DWORD dst_unused:UNUSED_PAD src0_sel:WORD_1
	v_cvt_f32_f16_sdwa v26, v26 dst_sel:DWORD dst_unused:UNUSED_PAD src0_sel:WORD_1
	s_waitcnt lgkmcnt(0)
	v_pk_add_f32 v[16:17], v[16:17], v[22:23]
	ds_bpermute_b32 v22, v34, v16
	ds_bpermute_b32 v23, v34, v17
	v_pk_add_f32 v[24:25], v[24:25], v[26:27]
	v_pk_add_f32 v[6:7], v[6:7], v[14:15]
	v_cndmask_b32_e32 v25, 0, v25, vcc
	v_cndmask_b32_e32 v24, 0, v24, vcc
	ds_bpermute_b32 v26, v8, v24
	ds_bpermute_b32 v27, v8, v25
	s_waitcnt lgkmcnt(2)
	v_pk_add_f32 v[14:15], v[16:17], v[22:23]
	v_cvt_f32_f16_sdwa v21, v20 dst_sel:DWORD dst_unused:UNUSED_PAD src0_sel:WORD_1
	ds_bpermute_b32 v16, v35, v14
	ds_bpermute_b32 v17, v35, v15
	s_waitcnt lgkmcnt(2)
	v_pk_add_f32 v[22:23], v[24:25], v[26:27]
	ds_bpermute_b32 v24, v1, v22
	ds_bpermute_b32 v25, v1, v23
	v_cvt_f32_f16_e32 v27, v20
	v_cvt_f32_f16_e32 v26, v13
	v_cvt_f32_f16_sdwa v20, v13 dst_sel:DWORD dst_unused:UNUSED_PAD src0_sel:WORD_1
	s_waitcnt lgkmcnt(2)
	v_pk_add_f32 v[14:15], v[14:15], v[16:17]
	s_waitcnt lgkmcnt(0)
	v_pk_add_f32 v[22:23], v[22:23], v[24:25]
	ds_bpermute_b32 v24, v34, v22
	v_pk_add_f32 v[20:21], v[26:27], v[20:21]
	ds_bpermute_b32 v25, v34, v23
	v_cndmask_b32_e32 v21, 0, v21, vcc
	v_cndmask_b32_e32 v20, 0, v20, vcc
	ds_bpermute_b32 v26, v8, v20
	ds_bpermute_b32 v27, v8, v21
	s_waitcnt lgkmcnt(2)
	v_pk_add_f32 v[16:17], v[22:23], v[24:25]
	ds_bpermute_b32 v22, v35, v16
	ds_bpermute_b32 v23, v35, v17
	v_cvt_f32_f16_sdwa v13, v12 dst_sel:DWORD dst_unused:UNUSED_PAD src0_sel:WORD_1
	s_waitcnt lgkmcnt(2)
	v_pk_add_f32 v[20:21], v[20:21], v[26:27]
	ds_bpermute_b32 v24, v1, v20
	ds_bpermute_b32 v25, v1, v21
	s_waitcnt lgkmcnt(2)
	v_pk_add_f32 v[22:23], v[16:17], v[22:23]
	v_cvt_f32_f16_sdwa v31, v9 dst_sel:DWORD dst_unused:UNUSED_PAD src0_sel:WORD_1
	v_cvt_f32_f16_sdwa v30, v10 dst_sel:DWORD dst_unused:UNUSED_PAD src0_sel:WORD_1
	ds_bpermute_b32 v26, v36, v14
	s_waitcnt lgkmcnt(1)
	v_pk_add_f32 v[16:17], v[20:21], v[24:25]
	v_cvt_f32_f16_e32 v25, v12
	v_cvt_f32_f16_e32 v24, v11
	v_cvt_f32_f16_sdwa v12, v11 dst_sel:DWORD dst_unused:UNUSED_PAD src0_sel:WORD_1
	ds_bpermute_b32 v20, v34, v16
	ds_bpermute_b32 v21, v34, v17
	;; [unrolled: 1-line block ×3, first 2 shown]
	v_pk_add_f32 v[12:13], v[24:25], v[12:13]
	v_cvt_f32_f16_e32 v25, v9
	v_cvt_f32_f16_e32 v24, v10
	v_cndmask_b32_e32 v11, 0, v13, vcc
	v_cndmask_b32_e32 v10, 0, v12, vcc
	ds_bpermute_b32 v12, v8, v10
	v_pk_add_f32 v[24:25], v[24:25], v[30:31]
	ds_bpermute_b32 v13, v8, v11
	v_cndmask_b32_e32 v25, 0, v25, vcc
	v_cndmask_b32_e32 v24, 0, v24, vcc
	ds_bpermute_b32 v30, v8, v24
	ds_bpermute_b32 v31, v8, v25
	s_waitcnt lgkmcnt(2)
	v_pk_add_f32 v[8:9], v[10:11], v[12:13]
	v_pk_add_f32 v[16:17], v[16:17], v[20:21]
	ds_bpermute_b32 v10, v1, v8
	ds_bpermute_b32 v11, v1, v9
	s_waitcnt lgkmcnt(2)
	v_pk_add_f32 v[12:13], v[24:25], v[30:31]
	ds_bpermute_b32 v24, v1, v12
	ds_bpermute_b32 v25, v1, v13
	;; [unrolled: 1-line block ×4, first 2 shown]
	s_waitcnt lgkmcnt(4)
	v_pk_add_f32 v[8:9], v[8:9], v[10:11]
	ds_bpermute_b32 v10, v34, v8
	s_waitcnt lgkmcnt(3)
	v_pk_add_f32 v[12:13], v[12:13], v[24:25]
	ds_bpermute_b32 v11, v34, v9
	;; [unrolled: 3-line block ×3, first 2 shown]
	ds_bpermute_b32 v17, v34, v13
	ds_bpermute_b32 v24, v36, v20
	s_waitcnt lgkmcnt(3)
	v_pk_add_f32 v[8:9], v[8:9], v[10:11]
	ds_bpermute_b32 v10, v35, v8
	ds_bpermute_b32 v11, v35, v9
	s_waitcnt lgkmcnt(3)
	v_pk_add_f32 v[12:13], v[12:13], v[16:17]
	ds_bpermute_b32 v16, v35, v12
	ds_bpermute_b32 v17, v35, v13
	ds_bpermute_b32 v25, v36, v21
	s_waitcnt lgkmcnt(3)
	v_pk_add_f32 v[8:9], v[8:9], v[10:11]
	ds_bpermute_b32 v28, v36, v22
	ds_bpermute_b32 v29, v36, v23
	s_waitcnt lgkmcnt(3)
	v_pk_add_f32 v[12:13], v[12:13], v[16:17]
	ds_bpermute_b32 v30, v36, v8
	ds_bpermute_b32 v31, v36, v9
	;; [unrolled: 1-line block ×4, first 2 shown]
	s_waitcnt lgkmcnt(6)
	v_pk_add_f32 v[10:11], v[20:21], v[24:25]
	v_xor_b32_e32 v20, 1, v18
	v_cmp_lt_i32_e32 vcc, v20, v19
	v_pk_add_f32 v[16:17], v[14:15], v[26:27]
	s_waitcnt lgkmcnt(4)
	v_pk_add_f32 v[14:15], v[22:23], v[28:29]
	v_cndmask_b32_e32 v18, v18, v20, vcc
	s_waitcnt lgkmcnt(2)
	v_pk_add_f32 v[8:9], v[8:9], v[30:31]
	s_waitcnt lgkmcnt(0)
	v_pk_add_f32 v[12:13], v[12:13], v[32:33]
	v_lshlrev_b32_e32 v37, 2, v18
	ds_bpermute_b32 v32, v37, v2
	ds_bpermute_b32 v33, v37, v3
	;; [unrolled: 1-line block ×16, first 2 shown]
	v_and_b32_e32 v38, 63, v0
	v_cmp_gt_u32_e32 vcc, 16, v38
	s_and_saveexec_b64 s[4:5], vcc
	s_cbranch_execz .LBB3_4
; %bb.3:
	s_waitcnt lgkmcnt(14)
	v_pk_add_f32 v[2:3], v[2:3], v[32:33]
	v_cmp_eq_u32_e32 vcc, 1, v38
	s_waitcnt lgkmcnt(12)
	v_pk_add_f32 v[4:5], v[4:5], v[30:31]
	s_waitcnt lgkmcnt(10)
	v_pk_add_f32 v[6:7], v[6:7], v[28:29]
	v_cndmask_b32_e32 v2, v2, v3, vcc
	v_cmp_eq_u32_e32 vcc, 2, v38
	s_waitcnt lgkmcnt(8)
	v_pk_add_f32 v[16:17], v[16:17], v[26:27]
	s_waitcnt lgkmcnt(6)
	v_pk_add_f32 v[14:15], v[14:15], v[24:25]
	v_cndmask_b32_e32 v2, v2, v4, vcc
	;; [unrolled: 6-line block ×3, first 2 shown]
	v_cmp_eq_u32_e32 vcc, 4, v38
	s_waitcnt lgkmcnt(0)
	v_pk_add_f32 v[12:13], v[12:13], v[22:23]
	v_lshrrev_b32_e32 v18, 4, v0
	v_cndmask_b32_e32 v2, v2, v6, vcc
	v_cmp_eq_u32_e32 vcc, 5, v38
	v_and_b32_e32 v18, 60, v18
	v_lshl_or_b32 v18, v38, 8, v18
	v_cndmask_b32_e32 v2, v2, v7, vcc
	v_cmp_eq_u32_e32 vcc, 6, v38
	s_nop 1
	v_cndmask_b32_e32 v2, v2, v16, vcc
	v_cmp_eq_u32_e32 vcc, 7, v38
	s_nop 1
	;; [unrolled: 3-line block ×10, first 2 shown]
	v_cndmask_b32_e32 v2, v2, v13, vcc
	ds_write_b32 v18, v2
.LBB3_4:
	s_or_b64 exec, exec, s[4:5]
	s_movk_i32 s3, 0x100
	v_cmp_gt_u32_e32 vcc, s3, v0
	s_waitcnt lgkmcnt(0)
	s_barrier
	s_and_saveexec_b64 s[4:5], vcc
	s_cbranch_execz .LBB3_9
; %bb.5:
	s_load_dword s0, s[0:1], 0x2c
	v_and_b32_e32 v3, 15, v0
	v_mov_b32_e32 v2, 0
	s_waitcnt lgkmcnt(0)
	s_and_b32 s0, 0xffff, s0
	s_lshr_b32 s0, s0, 6
	v_cmp_gt_u32_e32 vcc, s0, v3
	s_and_saveexec_b64 s[0:1], vcc
	s_cbranch_execz .LBB3_7
; %bb.6:
	v_lshlrev_b32_e32 v2, 2, v3
	v_lshlrev_b32_e32 v3, 4, v0
	s_movk_i32 s3, 0x3f00
	v_and_or_b32 v2, v3, s3, v2
	ds_read_b32 v2, v2
.LBB3_7:
	s_or_b64 exec, exec, s[0:1]
	s_waitcnt lgkmcnt(0)
	ds_bpermute_b32 v3, v34, v2
	s_waitcnt lgkmcnt(0)
	v_add_f32_e32 v2, v2, v3
	ds_bpermute_b32 v3, v35, v2
	s_waitcnt lgkmcnt(0)
	v_add_f32_e32 v2, v2, v3
	;; [unrolled: 3-line block ×4, first 2 shown]
	ds_bpermute_b32 v1, v1, v2
	v_and_b32_e32 v3, 31, v0
	v_cmp_eq_u32_e32 vcc, 0, v3
	s_and_b64 exec, exec, vcc
	s_cbranch_execz .LBB3_9
; %bb.8:
	v_cvt_f16_f32_e32 v4, v2
	s_waitcnt lgkmcnt(0)
	v_cvt_f16_f32_e32 v1, v1
	s_lshl_b32 s0, s2, 3
	s_and_b32 s0, s0, 0x7ffffff8
	v_lshrrev_b32_e32 v0, 5, v0
	v_mov_b32_e32 v2, s8
	v_mov_b32_e32 v3, s9
	v_pack_b32_f16 v4, v4, v1
	v_or_b32_e32 v0, s0, v0
	v_mov_b32_e32 v1, 0
	v_lshl_add_u64 v[0:1], v[0:1], 2, v[2:3]
	global_store_dword v[0:1], v4, off
.LBB3_9:
	s_endpgm
	.section	.rodata,"a",@progbits
	.p2align	6, 0x0
	.amdhsa_kernel _Z14LLGemm1_kernelIN3c104HalfELi16EEvPKT_S4_PS2_i
		.amdhsa_group_segment_fixed_size 4096
		.amdhsa_private_segment_fixed_size 0
		.amdhsa_kernarg_size 288
		.amdhsa_user_sgpr_count 2
		.amdhsa_user_sgpr_dispatch_ptr 0
		.amdhsa_user_sgpr_queue_ptr 0
		.amdhsa_user_sgpr_kernarg_segment_ptr 1
		.amdhsa_user_sgpr_dispatch_id 0
		.amdhsa_user_sgpr_kernarg_preload_length 0
		.amdhsa_user_sgpr_kernarg_preload_offset 0
		.amdhsa_user_sgpr_private_segment_size 0
		.amdhsa_uses_dynamic_stack 0
		.amdhsa_enable_private_segment 0
		.amdhsa_system_sgpr_workgroup_id_x 1
		.amdhsa_system_sgpr_workgroup_id_y 0
		.amdhsa_system_sgpr_workgroup_id_z 0
		.amdhsa_system_sgpr_workgroup_info 0
		.amdhsa_system_vgpr_workitem_id 0
		.amdhsa_next_free_vgpr 70
		.amdhsa_next_free_sgpr 14
		.amdhsa_accum_offset 72
		.amdhsa_reserve_vcc 1
		.amdhsa_float_round_mode_32 0
		.amdhsa_float_round_mode_16_64 0
		.amdhsa_float_denorm_mode_32 3
		.amdhsa_float_denorm_mode_16_64 3
		.amdhsa_dx10_clamp 1
		.amdhsa_ieee_mode 1
		.amdhsa_fp16_overflow 0
		.amdhsa_tg_split 0
		.amdhsa_exception_fp_ieee_invalid_op 0
		.amdhsa_exception_fp_denorm_src 0
		.amdhsa_exception_fp_ieee_div_zero 0
		.amdhsa_exception_fp_ieee_overflow 0
		.amdhsa_exception_fp_ieee_underflow 0
		.amdhsa_exception_fp_ieee_inexact 0
		.amdhsa_exception_int_div_zero 0
	.end_amdhsa_kernel
	.section	.text._Z14LLGemm1_kernelIN3c104HalfELi16EEvPKT_S4_PS2_i,"axG",@progbits,_Z14LLGemm1_kernelIN3c104HalfELi16EEvPKT_S4_PS2_i,comdat
.Lfunc_end3:
	.size	_Z14LLGemm1_kernelIN3c104HalfELi16EEvPKT_S4_PS2_i, .Lfunc_end3-_Z14LLGemm1_kernelIN3c104HalfELi16EEvPKT_S4_PS2_i
                                        ; -- End function
	.section	.AMDGPU.csdata,"",@progbits
; Kernel info:
; codeLenInByte = 3228
; NumSgprs: 20
; NumVgprs: 70
; NumAgprs: 0
; TotalNumVgprs: 70
; ScratchSize: 0
; MemoryBound: 0
; FloatMode: 240
; IeeeMode: 1
; LDSByteSize: 4096 bytes/workgroup (compile time only)
; SGPRBlocks: 2
; VGPRBlocks: 8
; NumSGPRsForWavesPerEU: 20
; NumVGPRsForWavesPerEU: 70
; AccumOffset: 72
; Occupancy: 7
; WaveLimiterHint : 0
; COMPUTE_PGM_RSRC2:SCRATCH_EN: 0
; COMPUTE_PGM_RSRC2:USER_SGPR: 2
; COMPUTE_PGM_RSRC2:TRAP_HANDLER: 0
; COMPUTE_PGM_RSRC2:TGID_X_EN: 1
; COMPUTE_PGM_RSRC2:TGID_Y_EN: 0
; COMPUTE_PGM_RSRC2:TGID_Z_EN: 0
; COMPUTE_PGM_RSRC2:TIDIG_COMP_CNT: 0
; COMPUTE_PGM_RSRC3_GFX90A:ACCUM_OFFSET: 17
; COMPUTE_PGM_RSRC3_GFX90A:TG_SPLIT: 0
	.section	.text._Z14LLGemm1_kernelIN3c108BFloat16ELi2EEvPKT_S4_PS2_i,"axG",@progbits,_Z14LLGemm1_kernelIN3c108BFloat16ELi2EEvPKT_S4_PS2_i,comdat
	.protected	_Z14LLGemm1_kernelIN3c108BFloat16ELi2EEvPKT_S4_PS2_i ; -- Begin function _Z14LLGemm1_kernelIN3c108BFloat16ELi2EEvPKT_S4_PS2_i
	.globl	_Z14LLGemm1_kernelIN3c108BFloat16ELi2EEvPKT_S4_PS2_i
	.p2align	8
	.type	_Z14LLGemm1_kernelIN3c108BFloat16ELi2EEvPKT_S4_PS2_i,@function
_Z14LLGemm1_kernelIN3c108BFloat16ELi2EEvPKT_S4_PS2_i: ; @_Z14LLGemm1_kernelIN3c108BFloat16ELi2EEvPKT_S4_PS2_i
; %bb.0:
	s_load_dword s3, s[0:1], 0x18
	s_load_dwordx4 s[4:7], s[0:1], 0x0
	s_load_dwordx2 s[8:9], s[0:1], 0x10
	v_lshlrev_b32_e32 v1, 3, v0
	s_mov_b32 s13, 0
	s_waitcnt lgkmcnt(0)
	v_cmp_gt_i32_e32 vcc, s3, v1
	v_mov_b32_e32 v10, 0
	v_mov_b32_e32 v1, 0
	;; [unrolled: 1-line block ×8, first 2 shown]
                                        ; implicit-def: $vgpr2
                                        ; implicit-def: $vgpr6
	s_and_saveexec_b64 s[10:11], vcc
	s_cbranch_execz .LBB4_2
; %bb.1:
	v_mov_b32_e32 v2, s4
	s_mul_i32 s4, s2, s3
	s_bfe_u32 s4, s4, 0x1d0002
	v_mov_b32_e32 v3, s5
	v_lshlrev_b32_e32 v1, 4, v0
	v_add_u32_e32 v4, s4, v0
	v_mov_b32_e32 v5, 0
	global_load_dwordx4 v[16:19], v1, s[6:7]
	s_lshr_b32 s12, s3, 3
	v_lshl_add_u64 v[10:11], v[4:5], 4, v[2:3]
	v_lshl_add_u64 v[12:13], s[12:13], 4, v[10:11]
	global_load_dwordx4 v[6:9], v[10:11], off nt
	global_load_dwordx4 v[2:5], v[12:13], off nt
	s_waitcnt vmcnt(2)
	v_and_b32_e32 v15, 0xffff0000, v16
	v_lshlrev_b32_e32 v16, 16, v16
	v_and_b32_e32 v13, 0xffff0000, v17
	v_lshlrev_b32_e32 v14, 16, v17
	;; [unrolled: 2-line block ×4, first 2 shown]
.LBB4_2:
	s_or_b64 exec, exec, s[10:11]
	s_waitcnt vmcnt(1)
	v_lshlrev_b32_e32 v17, 16, v6
	v_mul_f32_e32 v18, v16, v17
	s_mov_b32 s3, 0x7f800000
	v_and_b32_e32 v17, 0x7f800000, v18
	v_cmp_ne_u32_e64 s[4:5], s3, v17
                                        ; implicit-def: $vgpr17
	s_and_saveexec_b64 s[6:7], s[4:5]
	s_xor_b64 s[4:5], exec, s[6:7]
; %bb.3:
	v_bfe_u32 v17, v18, 16, 1
	s_movk_i32 s3, 0x7fff
	v_add3_u32 v17, v18, v17, s3
                                        ; implicit-def: $vgpr18
; %bb.4:
	s_andn2_saveexec_b64 s[6:7], s[4:5]
; %bb.5:
	v_mov_b32_e32 v17, 0
	v_or_b32_e32 v19, 0x10000, v18
	v_cmp_eq_u32_sdwa s[4:5], v18, v17 src0_sel:WORD_0 src1_sel:DWORD
	s_nop 1
	v_cndmask_b32_e64 v17, v19, v18, s[4:5]
; %bb.6:
	s_or_b64 exec, exec, s[6:7]
	v_and_b32_e32 v6, 0xffff0000, v6
	v_mul_f32_e32 v18, v15, v6
	s_mov_b32 s3, 0x7f800000
	v_and_b32_e32 v6, 0x7f800000, v18
	v_cmp_ne_u32_e64 s[4:5], s3, v6
                                        ; implicit-def: $vgpr6
	s_and_saveexec_b64 s[6:7], s[4:5]
	s_xor_b64 s[4:5], exec, s[6:7]
; %bb.7:
	v_bfe_u32 v6, v18, 16, 1
	s_movk_i32 s3, 0x7fff
	v_add3_u32 v6, v18, v6, s3
                                        ; implicit-def: $vgpr18
; %bb.8:
	s_andn2_saveexec_b64 s[6:7], s[4:5]
; %bb.9:
	v_mov_b32_e32 v6, 0
	v_or_b32_e32 v19, 0x10000, v18
	v_cmp_eq_u32_sdwa s[4:5], v18, v6 src0_sel:WORD_0 src1_sel:DWORD
	s_nop 1
	v_cndmask_b32_e64 v6, v19, v18, s[4:5]
; %bb.10:
	s_or_b64 exec, exec, s[6:7]
	v_and_b32_e32 v18, 0xffff0000, v17
	v_lshlrev_b32_e32 v17, 16, v7
	v_fmac_f32_e32 v18, v17, v14
	s_mov_b32 s3, 0x7f800000
	v_and_b32_e32 v17, 0x7f800000, v18
	v_cmp_ne_u32_e64 s[4:5], s3, v17
                                        ; implicit-def: $vgpr17
	s_and_saveexec_b64 s[6:7], s[4:5]
	s_xor_b64 s[4:5], exec, s[6:7]
; %bb.11:
	v_bfe_u32 v17, v18, 16, 1
	s_movk_i32 s3, 0x7fff
	v_add3_u32 v17, v18, v17, s3
                                        ; implicit-def: $vgpr18
; %bb.12:
	s_andn2_saveexec_b64 s[6:7], s[4:5]
; %bb.13:
	v_mov_b32_e32 v17, 0
	v_or_b32_e32 v19, 0x10000, v18
	v_cmp_eq_u32_sdwa s[4:5], v18, v17 src0_sel:WORD_0 src1_sel:DWORD
	s_nop 1
	v_cndmask_b32_e64 v17, v19, v18, s[4:5]
; %bb.14:
	s_or_b64 exec, exec, s[6:7]
	v_and_b32_e32 v18, 0xffff0000, v6
	v_and_b32_e32 v6, 0xffff0000, v7
	v_fmac_f32_e32 v18, v6, v13
	s_mov_b32 s3, 0x7f800000
	v_and_b32_e32 v6, 0x7f800000, v18
	v_cmp_ne_u32_e64 s[4:5], s3, v6
                                        ; implicit-def: $vgpr6
	s_and_saveexec_b64 s[6:7], s[4:5]
	s_xor_b64 s[4:5], exec, s[6:7]
; %bb.15:
	v_bfe_u32 v6, v18, 16, 1
	s_movk_i32 s3, 0x7fff
	v_add3_u32 v6, v18, v6, s3
                                        ; implicit-def: $vgpr18
; %bb.16:
	s_andn2_saveexec_b64 s[6:7], s[4:5]
; %bb.17:
	v_mov_b32_e32 v6, 0
	v_or_b32_e32 v7, 0x10000, v18
	v_cmp_eq_u32_sdwa s[4:5], v18, v6 src0_sel:WORD_0 src1_sel:DWORD
	s_nop 1
	v_cndmask_b32_e64 v6, v7, v18, s[4:5]
; %bb.18:
	s_or_b64 exec, exec, s[6:7]
	v_and_b32_e32 v17, 0xffff0000, v17
	v_lshlrev_b32_e32 v7, 16, v8
	v_fmac_f32_e32 v17, v7, v12
	s_mov_b32 s3, 0x7f800000
	v_and_b32_e32 v7, 0x7f800000, v17
	v_cmp_ne_u32_e64 s[4:5], s3, v7
                                        ; implicit-def: $vgpr7
	s_and_saveexec_b64 s[6:7], s[4:5]
	s_xor_b64 s[4:5], exec, s[6:7]
; %bb.19:
	v_bfe_u32 v7, v17, 16, 1
	s_movk_i32 s3, 0x7fff
	v_add3_u32 v7, v17, v7, s3
                                        ; implicit-def: $vgpr17
; %bb.20:
	s_andn2_saveexec_b64 s[6:7], s[4:5]
; %bb.21:
	v_mov_b32_e32 v7, 0
	v_or_b32_e32 v18, 0x10000, v17
	v_cmp_eq_u32_sdwa s[4:5], v17, v7 src0_sel:WORD_0 src1_sel:DWORD
	s_nop 1
	v_cndmask_b32_e64 v7, v18, v17, s[4:5]
; %bb.22:
	s_or_b64 exec, exec, s[6:7]
	v_and_b32_e32 v6, 0xffff0000, v6
	v_and_b32_e32 v8, 0xffff0000, v8
	v_fmac_f32_e32 v6, v8, v11
	s_mov_b32 s3, 0x7f800000
	v_and_b32_e32 v8, 0x7f800000, v6
	v_cmp_ne_u32_e64 s[4:5], s3, v8
                                        ; implicit-def: $vgpr8
	s_and_saveexec_b64 s[6:7], s[4:5]
	s_xor_b64 s[4:5], exec, s[6:7]
; %bb.23:
	v_bfe_u32 v8, v6, 16, 1
	s_movk_i32 s3, 0x7fff
	v_add3_u32 v8, v6, v8, s3
                                        ; implicit-def: $vgpr6
; %bb.24:
	s_andn2_saveexec_b64 s[6:7], s[4:5]
; %bb.25:
	v_mov_b32_e32 v8, 0
	v_or_b32_e32 v17, 0x10000, v6
	v_cmp_eq_u32_sdwa s[4:5], v6, v8 src0_sel:WORD_0 src1_sel:DWORD
	s_nop 1
	v_cndmask_b32_e64 v8, v17, v6, s[4:5]
; %bb.26:
	s_or_b64 exec, exec, s[6:7]
	v_and_b32_e32 v7, 0xffff0000, v7
	v_lshlrev_b32_e32 v6, 16, v9
	v_fmac_f32_e32 v7, v6, v10
	s_mov_b32 s3, 0x7f800000
	v_and_b32_e32 v6, 0x7f800000, v7
	v_cmp_ne_u32_e64 s[4:5], s3, v6
                                        ; implicit-def: $vgpr6
	s_and_saveexec_b64 s[6:7], s[4:5]
	s_xor_b64 s[4:5], exec, s[6:7]
; %bb.27:
	v_bfe_u32 v6, v7, 16, 1
	s_movk_i32 s3, 0x7fff
	v_add3_u32 v6, v7, v6, s3
                                        ; implicit-def: $vgpr7
; %bb.28:
	s_andn2_saveexec_b64 s[6:7], s[4:5]
; %bb.29:
	v_mov_b32_e32 v6, 0
	v_or_b32_e32 v17, 0x10000, v7
	v_cmp_eq_u32_sdwa s[4:5], v7, v6 src0_sel:WORD_0 src1_sel:DWORD
	s_nop 1
	v_cndmask_b32_e64 v6, v17, v7, s[4:5]
; %bb.30:
	s_or_b64 exec, exec, s[6:7]
	v_and_b32_e32 v8, 0xffff0000, v8
	v_and_b32_e32 v7, 0xffff0000, v9
	v_fmac_f32_e32 v8, v7, v1
	s_mov_b32 s3, 0x7f800000
	v_and_b32_e32 v7, 0x7f800000, v8
	v_cmp_ne_u32_e64 s[4:5], s3, v7
                                        ; implicit-def: $vgpr7
	s_and_saveexec_b64 s[6:7], s[4:5]
	s_xor_b64 s[4:5], exec, s[6:7]
; %bb.31:
	v_bfe_u32 v7, v8, 16, 1
	s_movk_i32 s3, 0x7fff
	v_add3_u32 v7, v8, v7, s3
                                        ; implicit-def: $vgpr8
; %bb.32:
	s_andn2_saveexec_b64 s[6:7], s[4:5]
; %bb.33:
	v_mov_b32_e32 v7, 0
	v_or_b32_e32 v9, 0x10000, v8
	v_cmp_eq_u32_sdwa s[4:5], v8, v7 src0_sel:WORD_0 src1_sel:DWORD
	s_nop 1
	v_cndmask_b32_e64 v7, v9, v8, s[4:5]
; %bb.34:
	s_or_b64 exec, exec, s[6:7]
	s_waitcnt vmcnt(0)
	v_lshlrev_b32_e32 v8, 16, v2
	v_mul_f32_e32 v9, v16, v8
	s_mov_b32 s3, 0x7f800000
	v_and_b32_e32 v8, 0x7f800000, v9
	v_cmp_ne_u32_e64 s[4:5], s3, v8
                                        ; implicit-def: $vgpr8
	s_and_saveexec_b64 s[6:7], s[4:5]
	s_xor_b64 s[4:5], exec, s[6:7]
; %bb.35:
	v_bfe_u32 v8, v9, 16, 1
	s_movk_i32 s3, 0x7fff
	v_add3_u32 v8, v9, v8, s3
                                        ; implicit-def: $vgpr9
; %bb.36:
	s_andn2_saveexec_b64 s[6:7], s[4:5]
; %bb.37:
	v_mov_b32_e32 v8, 0
	v_or_b32_e32 v16, 0x10000, v9
	v_cmp_eq_u32_sdwa s[4:5], v9, v8 src0_sel:WORD_0 src1_sel:DWORD
	s_nop 1
	v_cndmask_b32_e64 v8, v16, v9, s[4:5]
; %bb.38:
	s_or_b64 exec, exec, s[6:7]
	v_and_b32_e32 v2, 0xffff0000, v2
	v_mul_f32_e32 v9, v15, v2
	s_mov_b32 s3, 0x7f800000
	v_and_b32_e32 v2, 0x7f800000, v9
	v_cmp_ne_u32_e64 s[4:5], s3, v2
                                        ; implicit-def: $vgpr2
	s_and_saveexec_b64 s[6:7], s[4:5]
	s_xor_b64 s[4:5], exec, s[6:7]
; %bb.39:
	v_bfe_u32 v2, v9, 16, 1
	s_movk_i32 s3, 0x7fff
	v_add3_u32 v2, v9, v2, s3
                                        ; implicit-def: $vgpr9
; %bb.40:
	s_andn2_saveexec_b64 s[6:7], s[4:5]
; %bb.41:
	v_mov_b32_e32 v2, 0
	v_or_b32_e32 v15, 0x10000, v9
	v_cmp_eq_u32_sdwa s[4:5], v9, v2 src0_sel:WORD_0 src1_sel:DWORD
	s_nop 1
	v_cndmask_b32_e64 v2, v15, v9, s[4:5]
; %bb.42:
	s_or_b64 exec, exec, s[6:7]
	v_and_b32_e32 v9, 0xffff0000, v8
	v_lshlrev_b32_e32 v8, 16, v3
	v_fmac_f32_e32 v9, v8, v14
	s_mov_b32 s3, 0x7f800000
	v_and_b32_e32 v8, 0x7f800000, v9
	v_cmp_ne_u32_e64 s[4:5], s3, v8
                                        ; implicit-def: $vgpr8
	s_and_saveexec_b64 s[6:7], s[4:5]
	s_xor_b64 s[4:5], exec, s[6:7]
; %bb.43:
	v_bfe_u32 v8, v9, 16, 1
	s_movk_i32 s3, 0x7fff
	v_add3_u32 v8, v9, v8, s3
                                        ; implicit-def: $vgpr9
; %bb.44:
	s_andn2_saveexec_b64 s[6:7], s[4:5]
; %bb.45:
	v_mov_b32_e32 v8, 0
	v_or_b32_e32 v14, 0x10000, v9
	v_cmp_eq_u32_sdwa s[4:5], v9, v8 src0_sel:WORD_0 src1_sel:DWORD
	s_nop 1
	v_cndmask_b32_e64 v8, v14, v9, s[4:5]
; %bb.46:
	s_or_b64 exec, exec, s[6:7]
	v_and_b32_e32 v9, 0xffff0000, v2
	v_and_b32_e32 v2, 0xffff0000, v3
	v_fmac_f32_e32 v9, v2, v13
	s_mov_b32 s3, 0x7f800000
	v_and_b32_e32 v2, 0x7f800000, v9
	v_cmp_ne_u32_e64 s[4:5], s3, v2
                                        ; implicit-def: $vgpr2
	s_and_saveexec_b64 s[6:7], s[4:5]
	s_xor_b64 s[4:5], exec, s[6:7]
; %bb.47:
	v_bfe_u32 v2, v9, 16, 1
	s_movk_i32 s3, 0x7fff
	v_add3_u32 v2, v9, v2, s3
                                        ; implicit-def: $vgpr9
; %bb.48:
	s_andn2_saveexec_b64 s[6:7], s[4:5]
; %bb.49:
	v_mov_b32_e32 v2, 0
	v_or_b32_e32 v3, 0x10000, v9
	v_cmp_eq_u32_sdwa s[4:5], v9, v2 src0_sel:WORD_0 src1_sel:DWORD
	s_nop 1
	v_cndmask_b32_e64 v2, v3, v9, s[4:5]
; %bb.50:
	s_or_b64 exec, exec, s[6:7]
	v_and_b32_e32 v8, 0xffff0000, v8
	v_lshlrev_b32_e32 v3, 16, v4
	v_fmac_f32_e32 v8, v3, v12
	s_mov_b32 s3, 0x7f800000
	v_and_b32_e32 v3, 0x7f800000, v8
	v_cmp_ne_u32_e64 s[4:5], s3, v3
                                        ; implicit-def: $vgpr3
	s_and_saveexec_b64 s[6:7], s[4:5]
	s_xor_b64 s[4:5], exec, s[6:7]
; %bb.51:
	v_bfe_u32 v3, v8, 16, 1
	s_movk_i32 s3, 0x7fff
	v_add3_u32 v3, v8, v3, s3
                                        ; implicit-def: $vgpr8
; %bb.52:
	s_andn2_saveexec_b64 s[6:7], s[4:5]
; %bb.53:
	v_mov_b32_e32 v3, 0
	v_or_b32_e32 v9, 0x10000, v8
	v_cmp_eq_u32_sdwa s[4:5], v8, v3 src0_sel:WORD_0 src1_sel:DWORD
	s_nop 1
	v_cndmask_b32_e64 v3, v9, v8, s[4:5]
; %bb.54:
	s_or_b64 exec, exec, s[6:7]
	v_and_b32_e32 v2, 0xffff0000, v2
	v_and_b32_e32 v4, 0xffff0000, v4
	v_fmac_f32_e32 v2, v4, v11
	s_mov_b32 s3, 0x7f800000
	v_and_b32_e32 v4, 0x7f800000, v2
	v_cmp_ne_u32_e64 s[4:5], s3, v4
                                        ; implicit-def: $vgpr4
	s_and_saveexec_b64 s[6:7], s[4:5]
	s_xor_b64 s[4:5], exec, s[6:7]
; %bb.55:
	v_bfe_u32 v4, v2, 16, 1
	s_movk_i32 s3, 0x7fff
	v_add3_u32 v4, v2, v4, s3
                                        ; implicit-def: $vgpr2
; %bb.56:
	s_andn2_saveexec_b64 s[6:7], s[4:5]
; %bb.57:
	v_mov_b32_e32 v4, 0
	v_or_b32_e32 v8, 0x10000, v2
	v_cmp_eq_u32_sdwa s[4:5], v2, v4 src0_sel:WORD_0 src1_sel:DWORD
	s_nop 1
	v_cndmask_b32_e64 v4, v8, v2, s[4:5]
; %bb.58:
	s_or_b64 exec, exec, s[6:7]
	v_and_b32_e32 v3, 0xffff0000, v3
	v_lshlrev_b32_e32 v2, 16, v5
	v_fmac_f32_e32 v3, v2, v10
	s_mov_b32 s3, 0x7f800000
	v_and_b32_e32 v2, 0x7f800000, v3
	v_cmp_ne_u32_e64 s[4:5], s3, v2
                                        ; implicit-def: $vgpr2
	s_and_saveexec_b64 s[6:7], s[4:5]
	s_xor_b64 s[4:5], exec, s[6:7]
; %bb.59:
	v_bfe_u32 v2, v3, 16, 1
	s_movk_i32 s3, 0x7fff
	v_add3_u32 v2, v3, v2, s3
                                        ; implicit-def: $vgpr3
; %bb.60:
	s_andn2_saveexec_b64 s[6:7], s[4:5]
; %bb.61:
	v_mov_b32_e32 v2, 0
	v_or_b32_e32 v8, 0x10000, v3
	v_cmp_eq_u32_sdwa s[4:5], v3, v2 src0_sel:WORD_0 src1_sel:DWORD
	s_nop 1
	v_cndmask_b32_e64 v2, v8, v3, s[4:5]
; %bb.62:
	s_or_b64 exec, exec, s[6:7]
	v_and_b32_e32 v3, 0xffff0000, v4
	v_and_b32_e32 v4, 0xffff0000, v5
	v_fmac_f32_e32 v3, v4, v1
	s_mov_b32 s3, 0x7f800000
	v_and_b32_e32 v1, 0x7f800000, v3
	v_cmp_ne_u32_e64 s[4:5], s3, v1
                                        ; implicit-def: $vgpr1
	s_and_saveexec_b64 s[6:7], s[4:5]
	s_xor_b64 s[4:5], exec, s[6:7]
; %bb.63:
	v_bfe_u32 v1, v3, 16, 1
	s_movk_i32 s3, 0x7fff
	v_add3_u32 v1, v3, v1, s3
                                        ; implicit-def: $vgpr3
; %bb.64:
	s_andn2_saveexec_b64 s[6:7], s[4:5]
; %bb.65:
	v_mov_b32_e32 v1, 0
	v_or_b32_e32 v4, 0x10000, v3
	v_cmp_eq_u32_sdwa s[4:5], v3, v1 src0_sel:WORD_0 src1_sel:DWORD
	s_nop 1
	v_cndmask_b32_e64 v1, v4, v3, s[4:5]
; %bb.66:
	s_or_b64 exec, exec, s[6:7]
	v_and_b32_e32 v3, 0xffff0000, v6
	v_and_b32_e32 v4, 0xffff0000, v7
	v_add_f32_e32 v3, v3, v4
	v_cndmask_b32_e32 v4, 0, v3, vcc
	v_and_b32_e32 v3, 0xffff0000, v1
	v_mbcnt_lo_u32_b32 v1, -1, 0
	v_mbcnt_hi_u32_b32 v10, -1, v1
	v_and_b32_e32 v2, 0xffff0000, v2
	v_mov_b32_e32 v6, v3
	v_and_b32_e32 v1, 64, v10
	v_pk_add_f32 v[2:3], v[6:7], v[2:3] op_sel_hi:[0,1]
	v_add_u32_e32 v11, 64, v1
	v_xor_b32_e32 v1, 32, v10
	v_cndmask_b32_e32 v5, 0, v2, vcc
	v_cmp_lt_i32_e32 vcc, v1, v11
	s_nop 1
	v_cndmask_b32_e32 v1, v10, v1, vcc
	v_lshlrev_b32_e32 v1, 2, v1
	ds_bpermute_b32 v2, v1, v4
	ds_bpermute_b32 v3, v1, v5
	v_xor_b32_e32 v1, 16, v10
	v_cmp_lt_i32_e32 vcc, v1, v11
	s_waitcnt lgkmcnt(0)
	v_pk_add_f32 v[2:3], v[4:5], v[2:3]
	v_cndmask_b32_e32 v1, v10, v1, vcc
	v_lshlrev_b32_e32 v1, 2, v1
	ds_bpermute_b32 v6, v1, v2
	ds_bpermute_b32 v7, v1, v3
	v_xor_b32_e32 v4, 8, v10
	v_cmp_lt_i32_e32 vcc, v4, v11
	v_xor_b32_e32 v5, 4, v10
	s_waitcnt lgkmcnt(0)
	v_pk_add_f32 v[2:3], v[2:3], v[6:7]
	v_cndmask_b32_e32 v4, v10, v4, vcc
	v_lshlrev_b32_e32 v4, 2, v4
	ds_bpermute_b32 v6, v4, v2
	ds_bpermute_b32 v7, v4, v3
	v_cmp_lt_i32_e32 vcc, v5, v11
	s_waitcnt lgkmcnt(0)
	v_pk_add_f32 v[2:3], v[2:3], v[6:7]
	v_cndmask_b32_e32 v5, v10, v5, vcc
	v_lshlrev_b32_e32 v5, 2, v5
	ds_bpermute_b32 v8, v5, v2
	ds_bpermute_b32 v9, v5, v3
	v_xor_b32_e32 v6, 2, v10
	v_cmp_lt_i32_e32 vcc, v6, v11
	v_xor_b32_e32 v7, 1, v10
	s_waitcnt lgkmcnt(0)
	v_pk_add_f32 v[2:3], v[2:3], v[8:9]
	v_cndmask_b32_e32 v6, v10, v6, vcc
	v_lshlrev_b32_e32 v6, 2, v6
	ds_bpermute_b32 v8, v6, v2
	ds_bpermute_b32 v9, v6, v3
	v_cmp_lt_i32_e32 vcc, v7, v11
	s_waitcnt lgkmcnt(0)
	v_pk_add_f32 v[2:3], v[2:3], v[8:9]
	v_cndmask_b32_e32 v7, v10, v7, vcc
	v_lshlrev_b32_e32 v7, 2, v7
	ds_bpermute_b32 v8, v7, v2
	ds_bpermute_b32 v9, v7, v3
	v_and_b32_e32 v10, 63, v0
	v_cmp_gt_u32_e32 vcc, 2, v10
	s_and_saveexec_b64 s[4:5], vcc
	s_cbranch_execz .LBB4_68
; %bb.67:
	v_lshrrev_b32_e32 v11, 4, v0
	v_cmp_eq_u32_e32 vcc, 1, v10
	v_and_b32_e32 v11, 60, v11
	v_lshl_or_b32 v11, v10, 8, v11
	s_waitcnt lgkmcnt(0)
	v_cndmask_b32_e32 v8, v8, v9, vcc
	v_cndmask_b32_e32 v2, v2, v3, vcc
	v_add_f32_e32 v2, v2, v8
	ds_write_b32 v11, v2
.LBB4_68:
	s_or_b64 exec, exec, s[4:5]
	v_cmp_gt_u32_e32 vcc, 32, v0
	s_waitcnt lgkmcnt(0)
	s_barrier
	s_and_saveexec_b64 s[4:5], vcc
	s_cbranch_execz .LBB4_81
; %bb.69:
	s_load_dword s0, s[0:1], 0x2c
	v_and_b32_e32 v3, 15, v0
	v_mov_b32_e32 v2, 0
	s_waitcnt lgkmcnt(0)
	s_and_b32 s0, 0xffff, s0
	s_lshr_b32 s0, s0, 6
	v_cmp_gt_u32_e32 vcc, s0, v3
	s_and_saveexec_b64 s[0:1], vcc
	s_cbranch_execz .LBB4_71
; %bb.70:
	v_lshlrev_b32_e32 v2, 2, v3
	v_lshlrev_b32_e32 v3, 4, v0
	s_movk_i32 s3, 0x3f00
	v_and_or_b32 v2, v3, s3, v2
	ds_read_b32 v2, v2
.LBB4_71:
	s_or_b64 exec, exec, s[0:1]
	s_waitcnt lgkmcnt(0)
	ds_bpermute_b32 v3, v4, v2
	v_cmp_eq_u32_e32 vcc, 0, v0
	s_waitcnt lgkmcnt(0)
	v_add_f32_e32 v2, v2, v3
	ds_bpermute_b32 v3, v5, v2
	s_waitcnt lgkmcnt(0)
	v_add_f32_e32 v2, v2, v3
	ds_bpermute_b32 v3, v6, v2
	;; [unrolled: 3-line block ×4, first 2 shown]
	s_and_b64 exec, exec, vcc
	s_cbranch_execz .LBB4_81
; %bb.72:
	s_mov_b32 s0, 0x7f800000
	v_and_b32_e32 v0, 0x7f800000, v2
	v_cmp_ne_u32_e32 vcc, s0, v0
                                        ; implicit-def: $vgpr0
	s_and_saveexec_b64 s[0:1], vcc
	s_xor_b64 s[0:1], exec, s[0:1]
; %bb.73:
	v_bfe_u32 v0, v2, 16, 1
	s_movk_i32 s3, 0x7fff
	v_add3_u32 v0, v2, v0, s3
                                        ; implicit-def: $vgpr2
; %bb.74:
	s_andn2_saveexec_b64 s[0:1], s[0:1]
; %bb.75:
	v_mov_b32_e32 v0, 0
	v_or_b32_e32 v3, 0x10000, v2
	v_cmp_eq_u32_sdwa vcc, v2, v0 src0_sel:WORD_0 src1_sel:DWORD
	s_nop 1
	v_cndmask_b32_e32 v0, v3, v2, vcc
; %bb.76:
	s_or_b64 exec, exec, s[0:1]
	s_mov_b32 s0, 0x7f800000
	s_waitcnt lgkmcnt(0)
	v_and_b32_e32 v2, 0x7f800000, v1
	v_cmp_ne_u32_e32 vcc, s0, v2
                                        ; implicit-def: $vgpr2
	s_and_saveexec_b64 s[0:1], vcc
	s_xor_b64 s[0:1], exec, s[0:1]
; %bb.77:
	v_bfe_u32 v2, v1, 16, 1
	s_movk_i32 s3, 0x7fff
	v_add3_u32 v2, v1, v2, s3
                                        ; implicit-def: $vgpr1
; %bb.78:
	s_andn2_saveexec_b64 s[0:1], s[0:1]
; %bb.79:
	v_mov_b32_e32 v2, 0
	v_or_b32_e32 v3, 0x10000, v1
	v_cmp_eq_u32_sdwa vcc, v1, v2 src0_sel:WORD_0 src1_sel:DWORD
	s_nop 1
	v_cndmask_b32_e32 v2, v3, v1, vcc
; %bb.80:
	s_or_b64 exec, exec, s[0:1]
	s_and_b32 s0, s2, 0x7fffffff
	s_mov_b32 s1, 0
	s_lshl_b64 s[0:1], s[0:1], 2
	s_add_u32 s0, s8, s0
	s_mov_b32 s2, 0x7060302
	s_addc_u32 s1, s9, s1
	v_mov_b32_e32 v1, 0
	v_perm_b32 v0, v2, v0, s2
	global_store_dword v1, v0, s[0:1]
.LBB4_81:
	s_endpgm
	.section	.rodata,"a",@progbits
	.p2align	6, 0x0
	.amdhsa_kernel _Z14LLGemm1_kernelIN3c108BFloat16ELi2EEvPKT_S4_PS2_i
		.amdhsa_group_segment_fixed_size 512
		.amdhsa_private_segment_fixed_size 0
		.amdhsa_kernarg_size 288
		.amdhsa_user_sgpr_count 2
		.amdhsa_user_sgpr_dispatch_ptr 0
		.amdhsa_user_sgpr_queue_ptr 0
		.amdhsa_user_sgpr_kernarg_segment_ptr 1
		.amdhsa_user_sgpr_dispatch_id 0
		.amdhsa_user_sgpr_kernarg_preload_length 0
		.amdhsa_user_sgpr_kernarg_preload_offset 0
		.amdhsa_user_sgpr_private_segment_size 0
		.amdhsa_uses_dynamic_stack 0
		.amdhsa_enable_private_segment 0
		.amdhsa_system_sgpr_workgroup_id_x 1
		.amdhsa_system_sgpr_workgroup_id_y 0
		.amdhsa_system_sgpr_workgroup_id_z 0
		.amdhsa_system_sgpr_workgroup_info 0
		.amdhsa_system_vgpr_workitem_id 0
		.amdhsa_next_free_vgpr 20
		.amdhsa_next_free_sgpr 14
		.amdhsa_accum_offset 20
		.amdhsa_reserve_vcc 1
		.amdhsa_float_round_mode_32 0
		.amdhsa_float_round_mode_16_64 0
		.amdhsa_float_denorm_mode_32 3
		.amdhsa_float_denorm_mode_16_64 3
		.amdhsa_dx10_clamp 1
		.amdhsa_ieee_mode 1
		.amdhsa_fp16_overflow 0
		.amdhsa_tg_split 0
		.amdhsa_exception_fp_ieee_invalid_op 0
		.amdhsa_exception_fp_denorm_src 0
		.amdhsa_exception_fp_ieee_div_zero 0
		.amdhsa_exception_fp_ieee_overflow 0
		.amdhsa_exception_fp_ieee_underflow 0
		.amdhsa_exception_fp_ieee_inexact 0
		.amdhsa_exception_int_div_zero 0
	.end_amdhsa_kernel
	.section	.text._Z14LLGemm1_kernelIN3c108BFloat16ELi2EEvPKT_S4_PS2_i,"axG",@progbits,_Z14LLGemm1_kernelIN3c108BFloat16ELi2EEvPKT_S4_PS2_i,comdat
.Lfunc_end4:
	.size	_Z14LLGemm1_kernelIN3c108BFloat16ELi2EEvPKT_S4_PS2_i, .Lfunc_end4-_Z14LLGemm1_kernelIN3c108BFloat16ELi2EEvPKT_S4_PS2_i
                                        ; -- End function
	.section	.AMDGPU.csdata,"",@progbits
; Kernel info:
; codeLenInByte = 2760
; NumSgprs: 20
; NumVgprs: 20
; NumAgprs: 0
; TotalNumVgprs: 20
; ScratchSize: 0
; MemoryBound: 0
; FloatMode: 240
; IeeeMode: 1
; LDSByteSize: 512 bytes/workgroup (compile time only)
; SGPRBlocks: 2
; VGPRBlocks: 2
; NumSGPRsForWavesPerEU: 20
; NumVGPRsForWavesPerEU: 20
; AccumOffset: 20
; Occupancy: 8
; WaveLimiterHint : 0
; COMPUTE_PGM_RSRC2:SCRATCH_EN: 0
; COMPUTE_PGM_RSRC2:USER_SGPR: 2
; COMPUTE_PGM_RSRC2:TRAP_HANDLER: 0
; COMPUTE_PGM_RSRC2:TGID_X_EN: 1
; COMPUTE_PGM_RSRC2:TGID_Y_EN: 0
; COMPUTE_PGM_RSRC2:TGID_Z_EN: 0
; COMPUTE_PGM_RSRC2:TIDIG_COMP_CNT: 0
; COMPUTE_PGM_RSRC3_GFX90A:ACCUM_OFFSET: 4
; COMPUTE_PGM_RSRC3_GFX90A:TG_SPLIT: 0
	.section	.text._Z14LLGemm1_kernelIN3c108BFloat16ELi4EEvPKT_S4_PS2_i,"axG",@progbits,_Z14LLGemm1_kernelIN3c108BFloat16ELi4EEvPKT_S4_PS2_i,comdat
	.protected	_Z14LLGemm1_kernelIN3c108BFloat16ELi4EEvPKT_S4_PS2_i ; -- Begin function _Z14LLGemm1_kernelIN3c108BFloat16ELi4EEvPKT_S4_PS2_i
	.globl	_Z14LLGemm1_kernelIN3c108BFloat16ELi4EEvPKT_S4_PS2_i
	.p2align	8
	.type	_Z14LLGemm1_kernelIN3c108BFloat16ELi4EEvPKT_S4_PS2_i,@function
_Z14LLGemm1_kernelIN3c108BFloat16ELi4EEvPKT_S4_PS2_i: ; @_Z14LLGemm1_kernelIN3c108BFloat16ELi4EEvPKT_S4_PS2_i
; %bb.0:
	s_load_dword s3, s[0:1], 0x18
	s_load_dwordx4 s[4:7], s[0:1], 0x0
	s_load_dwordx2 s[8:9], s[0:1], 0x10
	v_lshlrev_b32_e32 v1, 3, v0
	s_mov_b32 s13, 0
	s_waitcnt lgkmcnt(0)
	v_cmp_gt_i32_e32 vcc, s3, v1
	v_mov_b32_e32 v18, 0
	v_mov_b32_e32 v1, 0
	;; [unrolled: 1-line block ×8, first 2 shown]
                                        ; implicit-def: $vgpr2
                                        ; implicit-def: $vgpr6
                                        ; implicit-def: $vgpr10
                                        ; implicit-def: $vgpr14
	s_and_saveexec_b64 s[10:11], vcc
	s_cbranch_execz .LBB5_2
; %bb.1:
	s_mul_i32 s12, s2, s3
	s_bfe_u32 s12, s12, 0x1d0001
	v_add_u32_e32 v2, s12, v0
	s_lshr_b32 s12, s3, 3
	v_mov_b32_e32 v3, 0
	s_add_i32 s3, s12, s12
	v_lshl_add_u64 v[4:5], v[2:3], 4, s[4:5]
	v_add_u32_e32 v2, s3, v2
	v_lshl_add_u64 v[6:7], s[12:13], 4, v[4:5]
	v_lshlrev_b32_e32 v1, 4, v0
	v_lshl_add_u64 v[18:19], v[2:3], 4, s[4:5]
	v_add_u32_e32 v2, s12, v2
	global_load_dwordx4 v[24:27], v1, s[6:7]
	global_load_dwordx4 v[14:17], v[4:5], off nt
	global_load_dwordx4 v[10:13], v[6:7], off nt
	v_lshl_add_u64 v[20:21], v[2:3], 4, s[4:5]
	global_load_dwordx4 v[6:9], v[18:19], off nt
	global_load_dwordx4 v[2:5], v[20:21], off nt
	s_waitcnt vmcnt(4)
	v_and_b32_e32 v23, 0xffff0000, v24
	v_lshlrev_b32_e32 v24, 16, v24
	v_and_b32_e32 v21, 0xffff0000, v25
	v_lshlrev_b32_e32 v22, 16, v25
	v_and_b32_e32 v19, 0xffff0000, v26
	v_lshlrev_b32_e32 v20, 16, v26
	v_and_b32_e32 v1, 0xffff0000, v27
	v_lshlrev_b32_e32 v18, 16, v27
.LBB5_2:
	s_or_b64 exec, exec, s[10:11]
	s_waitcnt vmcnt(3)
	v_lshlrev_b32_e32 v25, 16, v14
	v_mul_f32_e32 v26, v24, v25
	s_mov_b32 s3, 0x7f800000
	v_and_b32_e32 v25, 0x7f800000, v26
	v_cmp_ne_u32_e64 s[4:5], s3, v25
                                        ; implicit-def: $vgpr25
	s_and_saveexec_b64 s[6:7], s[4:5]
	s_xor_b64 s[4:5], exec, s[6:7]
; %bb.3:
	v_bfe_u32 v25, v26, 16, 1
	s_movk_i32 s3, 0x7fff
	v_add3_u32 v25, v26, v25, s3
                                        ; implicit-def: $vgpr26
; %bb.4:
	s_andn2_saveexec_b64 s[6:7], s[4:5]
; %bb.5:
	v_mov_b32_e32 v25, 0
	v_or_b32_e32 v27, 0x10000, v26
	v_cmp_eq_u32_sdwa s[4:5], v26, v25 src0_sel:WORD_0 src1_sel:DWORD
	s_nop 1
	v_cndmask_b32_e64 v25, v27, v26, s[4:5]
; %bb.6:
	s_or_b64 exec, exec, s[6:7]
	v_and_b32_e32 v14, 0xffff0000, v14
	v_mul_f32_e32 v26, v23, v14
	s_mov_b32 s3, 0x7f800000
	v_and_b32_e32 v14, 0x7f800000, v26
	v_cmp_ne_u32_e64 s[4:5], s3, v14
                                        ; implicit-def: $vgpr14
	s_and_saveexec_b64 s[6:7], s[4:5]
	s_xor_b64 s[4:5], exec, s[6:7]
; %bb.7:
	v_bfe_u32 v14, v26, 16, 1
	s_movk_i32 s3, 0x7fff
	v_add3_u32 v14, v26, v14, s3
                                        ; implicit-def: $vgpr26
; %bb.8:
	s_andn2_saveexec_b64 s[6:7], s[4:5]
; %bb.9:
	v_mov_b32_e32 v14, 0
	v_or_b32_e32 v27, 0x10000, v26
	v_cmp_eq_u32_sdwa s[4:5], v26, v14 src0_sel:WORD_0 src1_sel:DWORD
	s_nop 1
	v_cndmask_b32_e64 v14, v27, v26, s[4:5]
; %bb.10:
	s_or_b64 exec, exec, s[6:7]
	v_and_b32_e32 v26, 0xffff0000, v25
	v_lshlrev_b32_e32 v25, 16, v15
	v_fmac_f32_e32 v26, v25, v22
	s_mov_b32 s3, 0x7f800000
	v_and_b32_e32 v25, 0x7f800000, v26
	v_cmp_ne_u32_e64 s[4:5], s3, v25
                                        ; implicit-def: $vgpr25
	s_and_saveexec_b64 s[6:7], s[4:5]
	s_xor_b64 s[4:5], exec, s[6:7]
; %bb.11:
	v_bfe_u32 v25, v26, 16, 1
	s_movk_i32 s3, 0x7fff
	v_add3_u32 v25, v26, v25, s3
                                        ; implicit-def: $vgpr26
; %bb.12:
	s_andn2_saveexec_b64 s[6:7], s[4:5]
; %bb.13:
	v_mov_b32_e32 v25, 0
	v_or_b32_e32 v27, 0x10000, v26
	v_cmp_eq_u32_sdwa s[4:5], v26, v25 src0_sel:WORD_0 src1_sel:DWORD
	s_nop 1
	v_cndmask_b32_e64 v25, v27, v26, s[4:5]
; %bb.14:
	s_or_b64 exec, exec, s[6:7]
	v_and_b32_e32 v26, 0xffff0000, v14
	v_and_b32_e32 v14, 0xffff0000, v15
	v_fmac_f32_e32 v26, v14, v21
	s_mov_b32 s3, 0x7f800000
	v_and_b32_e32 v14, 0x7f800000, v26
	v_cmp_ne_u32_e64 s[4:5], s3, v14
                                        ; implicit-def: $vgpr14
	s_and_saveexec_b64 s[6:7], s[4:5]
	s_xor_b64 s[4:5], exec, s[6:7]
; %bb.15:
	v_bfe_u32 v14, v26, 16, 1
	s_movk_i32 s3, 0x7fff
	v_add3_u32 v14, v26, v14, s3
                                        ; implicit-def: $vgpr26
; %bb.16:
	s_andn2_saveexec_b64 s[6:7], s[4:5]
; %bb.17:
	v_mov_b32_e32 v14, 0
	v_or_b32_e32 v15, 0x10000, v26
	v_cmp_eq_u32_sdwa s[4:5], v26, v14 src0_sel:WORD_0 src1_sel:DWORD
	s_nop 1
	v_cndmask_b32_e64 v14, v15, v26, s[4:5]
; %bb.18:
	s_or_b64 exec, exec, s[6:7]
	v_and_b32_e32 v25, 0xffff0000, v25
	v_lshlrev_b32_e32 v15, 16, v16
	v_fmac_f32_e32 v25, v15, v20
	s_mov_b32 s3, 0x7f800000
	v_and_b32_e32 v15, 0x7f800000, v25
	v_cmp_ne_u32_e64 s[4:5], s3, v15
                                        ; implicit-def: $vgpr15
	s_and_saveexec_b64 s[6:7], s[4:5]
	s_xor_b64 s[4:5], exec, s[6:7]
; %bb.19:
	v_bfe_u32 v15, v25, 16, 1
	s_movk_i32 s3, 0x7fff
	v_add3_u32 v15, v25, v15, s3
                                        ; implicit-def: $vgpr25
; %bb.20:
	s_andn2_saveexec_b64 s[6:7], s[4:5]
; %bb.21:
	v_mov_b32_e32 v15, 0
	v_or_b32_e32 v26, 0x10000, v25
	v_cmp_eq_u32_sdwa s[4:5], v25, v15 src0_sel:WORD_0 src1_sel:DWORD
	s_nop 1
	v_cndmask_b32_e64 v15, v26, v25, s[4:5]
; %bb.22:
	s_or_b64 exec, exec, s[6:7]
	v_and_b32_e32 v14, 0xffff0000, v14
	v_and_b32_e32 v16, 0xffff0000, v16
	v_fmac_f32_e32 v14, v16, v19
	s_mov_b32 s3, 0x7f800000
	v_and_b32_e32 v16, 0x7f800000, v14
	v_cmp_ne_u32_e64 s[4:5], s3, v16
                                        ; implicit-def: $vgpr16
	s_and_saveexec_b64 s[6:7], s[4:5]
	s_xor_b64 s[4:5], exec, s[6:7]
; %bb.23:
	v_bfe_u32 v16, v14, 16, 1
	s_movk_i32 s3, 0x7fff
	v_add3_u32 v16, v14, v16, s3
                                        ; implicit-def: $vgpr14
; %bb.24:
	s_andn2_saveexec_b64 s[6:7], s[4:5]
; %bb.25:
	v_mov_b32_e32 v16, 0
	v_or_b32_e32 v25, 0x10000, v14
	v_cmp_eq_u32_sdwa s[4:5], v14, v16 src0_sel:WORD_0 src1_sel:DWORD
	s_nop 1
	v_cndmask_b32_e64 v16, v25, v14, s[4:5]
; %bb.26:
	s_or_b64 exec, exec, s[6:7]
	v_and_b32_e32 v15, 0xffff0000, v15
	v_lshlrev_b32_e32 v14, 16, v17
	v_fmac_f32_e32 v15, v14, v18
	s_mov_b32 s3, 0x7f800000
	v_and_b32_e32 v14, 0x7f800000, v15
	v_cmp_ne_u32_e64 s[4:5], s3, v14
                                        ; implicit-def: $vgpr14
	s_and_saveexec_b64 s[6:7], s[4:5]
	s_xor_b64 s[4:5], exec, s[6:7]
; %bb.27:
	v_bfe_u32 v14, v15, 16, 1
	s_movk_i32 s3, 0x7fff
	v_add3_u32 v14, v15, v14, s3
                                        ; implicit-def: $vgpr15
; %bb.28:
	s_andn2_saveexec_b64 s[6:7], s[4:5]
; %bb.29:
	v_mov_b32_e32 v14, 0
	v_or_b32_e32 v25, 0x10000, v15
	v_cmp_eq_u32_sdwa s[4:5], v15, v14 src0_sel:WORD_0 src1_sel:DWORD
	s_nop 1
	v_cndmask_b32_e64 v14, v25, v15, s[4:5]
; %bb.30:
	s_or_b64 exec, exec, s[6:7]
	v_and_b32_e32 v16, 0xffff0000, v16
	v_and_b32_e32 v15, 0xffff0000, v17
	v_fmac_f32_e32 v16, v15, v1
	s_mov_b32 s3, 0x7f800000
	v_and_b32_e32 v15, 0x7f800000, v16
	v_cmp_ne_u32_e64 s[4:5], s3, v15
                                        ; implicit-def: $vgpr15
	s_and_saveexec_b64 s[6:7], s[4:5]
	s_xor_b64 s[4:5], exec, s[6:7]
; %bb.31:
	v_bfe_u32 v15, v16, 16, 1
	s_movk_i32 s3, 0x7fff
	v_add3_u32 v15, v16, v15, s3
                                        ; implicit-def: $vgpr16
; %bb.32:
	s_andn2_saveexec_b64 s[6:7], s[4:5]
; %bb.33:
	v_mov_b32_e32 v15, 0
	v_or_b32_e32 v17, 0x10000, v16
	v_cmp_eq_u32_sdwa s[4:5], v16, v15 src0_sel:WORD_0 src1_sel:DWORD
	s_nop 1
	v_cndmask_b32_e64 v15, v17, v16, s[4:5]
; %bb.34:
	s_or_b64 exec, exec, s[6:7]
	s_waitcnt vmcnt(2)
	v_lshlrev_b32_e32 v16, 16, v10
	v_mul_f32_e32 v17, v24, v16
	s_mov_b32 s3, 0x7f800000
	v_and_b32_e32 v16, 0x7f800000, v17
	v_cmp_ne_u32_e64 s[4:5], s3, v16
                                        ; implicit-def: $vgpr16
	s_and_saveexec_b64 s[6:7], s[4:5]
	s_xor_b64 s[4:5], exec, s[6:7]
; %bb.35:
	v_bfe_u32 v16, v17, 16, 1
	s_movk_i32 s3, 0x7fff
	v_add3_u32 v16, v17, v16, s3
                                        ; implicit-def: $vgpr17
; %bb.36:
	s_andn2_saveexec_b64 s[6:7], s[4:5]
; %bb.37:
	v_mov_b32_e32 v16, 0
	v_or_b32_e32 v25, 0x10000, v17
	v_cmp_eq_u32_sdwa s[4:5], v17, v16 src0_sel:WORD_0 src1_sel:DWORD
	s_nop 1
	v_cndmask_b32_e64 v16, v25, v17, s[4:5]
; %bb.38:
	s_or_b64 exec, exec, s[6:7]
	v_and_b32_e32 v10, 0xffff0000, v10
	v_mul_f32_e32 v17, v23, v10
	s_mov_b32 s3, 0x7f800000
	v_and_b32_e32 v10, 0x7f800000, v17
	v_cmp_ne_u32_e64 s[4:5], s3, v10
                                        ; implicit-def: $vgpr10
	s_and_saveexec_b64 s[6:7], s[4:5]
	s_xor_b64 s[4:5], exec, s[6:7]
; %bb.39:
	v_bfe_u32 v10, v17, 16, 1
	s_movk_i32 s3, 0x7fff
	v_add3_u32 v10, v17, v10, s3
                                        ; implicit-def: $vgpr17
; %bb.40:
	s_andn2_saveexec_b64 s[6:7], s[4:5]
; %bb.41:
	v_mov_b32_e32 v10, 0
	v_or_b32_e32 v25, 0x10000, v17
	v_cmp_eq_u32_sdwa s[4:5], v17, v10 src0_sel:WORD_0 src1_sel:DWORD
	s_nop 1
	v_cndmask_b32_e64 v10, v25, v17, s[4:5]
; %bb.42:
	s_or_b64 exec, exec, s[6:7]
	v_and_b32_e32 v17, 0xffff0000, v16
	v_lshlrev_b32_e32 v16, 16, v11
	v_fmac_f32_e32 v17, v16, v22
	s_mov_b32 s3, 0x7f800000
	v_and_b32_e32 v16, 0x7f800000, v17
	v_cmp_ne_u32_e64 s[4:5], s3, v16
                                        ; implicit-def: $vgpr16
	s_and_saveexec_b64 s[6:7], s[4:5]
	s_xor_b64 s[4:5], exec, s[6:7]
; %bb.43:
	v_bfe_u32 v16, v17, 16, 1
	s_movk_i32 s3, 0x7fff
	v_add3_u32 v16, v17, v16, s3
                                        ; implicit-def: $vgpr17
; %bb.44:
	s_andn2_saveexec_b64 s[6:7], s[4:5]
; %bb.45:
	v_mov_b32_e32 v16, 0
	v_or_b32_e32 v25, 0x10000, v17
	v_cmp_eq_u32_sdwa s[4:5], v17, v16 src0_sel:WORD_0 src1_sel:DWORD
	s_nop 1
	v_cndmask_b32_e64 v16, v25, v17, s[4:5]
; %bb.46:
	s_or_b64 exec, exec, s[6:7]
	v_and_b32_e32 v17, 0xffff0000, v10
	v_and_b32_e32 v10, 0xffff0000, v11
	v_fmac_f32_e32 v17, v10, v21
	s_mov_b32 s3, 0x7f800000
	v_and_b32_e32 v10, 0x7f800000, v17
	v_cmp_ne_u32_e64 s[4:5], s3, v10
                                        ; implicit-def: $vgpr10
	s_and_saveexec_b64 s[6:7], s[4:5]
	s_xor_b64 s[4:5], exec, s[6:7]
; %bb.47:
	v_bfe_u32 v10, v17, 16, 1
	s_movk_i32 s3, 0x7fff
	v_add3_u32 v10, v17, v10, s3
                                        ; implicit-def: $vgpr17
; %bb.48:
	s_andn2_saveexec_b64 s[6:7], s[4:5]
; %bb.49:
	v_mov_b32_e32 v10, 0
	v_or_b32_e32 v11, 0x10000, v17
	v_cmp_eq_u32_sdwa s[4:5], v17, v10 src0_sel:WORD_0 src1_sel:DWORD
	s_nop 1
	v_cndmask_b32_e64 v10, v11, v17, s[4:5]
; %bb.50:
	s_or_b64 exec, exec, s[6:7]
	v_and_b32_e32 v16, 0xffff0000, v16
	v_lshlrev_b32_e32 v11, 16, v12
	v_fmac_f32_e32 v16, v11, v20
	s_mov_b32 s3, 0x7f800000
	v_and_b32_e32 v11, 0x7f800000, v16
	v_cmp_ne_u32_e64 s[4:5], s3, v11
                                        ; implicit-def: $vgpr11
	s_and_saveexec_b64 s[6:7], s[4:5]
	s_xor_b64 s[4:5], exec, s[6:7]
; %bb.51:
	v_bfe_u32 v11, v16, 16, 1
	s_movk_i32 s3, 0x7fff
	v_add3_u32 v11, v16, v11, s3
                                        ; implicit-def: $vgpr16
; %bb.52:
	s_andn2_saveexec_b64 s[6:7], s[4:5]
; %bb.53:
	v_mov_b32_e32 v11, 0
	v_or_b32_e32 v17, 0x10000, v16
	v_cmp_eq_u32_sdwa s[4:5], v16, v11 src0_sel:WORD_0 src1_sel:DWORD
	s_nop 1
	v_cndmask_b32_e64 v11, v17, v16, s[4:5]
; %bb.54:
	s_or_b64 exec, exec, s[6:7]
	v_and_b32_e32 v10, 0xffff0000, v10
	v_and_b32_e32 v12, 0xffff0000, v12
	v_fmac_f32_e32 v10, v12, v19
	s_mov_b32 s3, 0x7f800000
	v_and_b32_e32 v12, 0x7f800000, v10
	v_cmp_ne_u32_e64 s[4:5], s3, v12
                                        ; implicit-def: $vgpr12
	s_and_saveexec_b64 s[6:7], s[4:5]
	s_xor_b64 s[4:5], exec, s[6:7]
; %bb.55:
	v_bfe_u32 v12, v10, 16, 1
	s_movk_i32 s3, 0x7fff
	v_add3_u32 v12, v10, v12, s3
                                        ; implicit-def: $vgpr10
; %bb.56:
	s_andn2_saveexec_b64 s[6:7], s[4:5]
; %bb.57:
	v_mov_b32_e32 v12, 0
	v_or_b32_e32 v16, 0x10000, v10
	v_cmp_eq_u32_sdwa s[4:5], v10, v12 src0_sel:WORD_0 src1_sel:DWORD
	s_nop 1
	v_cndmask_b32_e64 v12, v16, v10, s[4:5]
; %bb.58:
	s_or_b64 exec, exec, s[6:7]
	v_and_b32_e32 v11, 0xffff0000, v11
	v_lshlrev_b32_e32 v10, 16, v13
	v_fmac_f32_e32 v11, v10, v18
	s_mov_b32 s3, 0x7f800000
	v_and_b32_e32 v10, 0x7f800000, v11
	v_cmp_ne_u32_e64 s[4:5], s3, v10
                                        ; implicit-def: $vgpr10
	s_and_saveexec_b64 s[6:7], s[4:5]
	s_xor_b64 s[4:5], exec, s[6:7]
; %bb.59:
	v_bfe_u32 v10, v11, 16, 1
	s_movk_i32 s3, 0x7fff
	v_add3_u32 v10, v11, v10, s3
                                        ; implicit-def: $vgpr11
; %bb.60:
	s_andn2_saveexec_b64 s[6:7], s[4:5]
; %bb.61:
	v_mov_b32_e32 v10, 0
	v_or_b32_e32 v16, 0x10000, v11
	v_cmp_eq_u32_sdwa s[4:5], v11, v10 src0_sel:WORD_0 src1_sel:DWORD
	s_nop 1
	v_cndmask_b32_e64 v10, v16, v11, s[4:5]
; %bb.62:
	s_or_b64 exec, exec, s[6:7]
	v_and_b32_e32 v12, 0xffff0000, v12
	v_and_b32_e32 v11, 0xffff0000, v13
	v_fmac_f32_e32 v12, v11, v1
	s_mov_b32 s3, 0x7f800000
	v_and_b32_e32 v11, 0x7f800000, v12
	v_cmp_ne_u32_e64 s[4:5], s3, v11
                                        ; implicit-def: $vgpr11
	s_and_saveexec_b64 s[6:7], s[4:5]
	s_xor_b64 s[4:5], exec, s[6:7]
; %bb.63:
	v_bfe_u32 v11, v12, 16, 1
	s_movk_i32 s3, 0x7fff
	v_add3_u32 v11, v12, v11, s3
                                        ; implicit-def: $vgpr12
; %bb.64:
	s_andn2_saveexec_b64 s[6:7], s[4:5]
; %bb.65:
	v_mov_b32_e32 v11, 0
	v_or_b32_e32 v13, 0x10000, v12
	v_cmp_eq_u32_sdwa s[4:5], v12, v11 src0_sel:WORD_0 src1_sel:DWORD
	s_nop 1
	v_cndmask_b32_e64 v11, v13, v12, s[4:5]
; %bb.66:
	s_or_b64 exec, exec, s[6:7]
	s_waitcnt vmcnt(1)
	v_lshlrev_b32_e32 v12, 16, v6
	v_mul_f32_e32 v13, v24, v12
	s_mov_b32 s3, 0x7f800000
	v_and_b32_e32 v12, 0x7f800000, v13
	v_cmp_ne_u32_e64 s[4:5], s3, v12
                                        ; implicit-def: $vgpr12
	s_and_saveexec_b64 s[6:7], s[4:5]
	s_xor_b64 s[4:5], exec, s[6:7]
; %bb.67:
	v_bfe_u32 v12, v13, 16, 1
	s_movk_i32 s3, 0x7fff
	v_add3_u32 v12, v13, v12, s3
                                        ; implicit-def: $vgpr13
; %bb.68:
	s_andn2_saveexec_b64 s[6:7], s[4:5]
; %bb.69:
	v_mov_b32_e32 v12, 0
	v_or_b32_e32 v16, 0x10000, v13
	v_cmp_eq_u32_sdwa s[4:5], v13, v12 src0_sel:WORD_0 src1_sel:DWORD
	s_nop 1
	v_cndmask_b32_e64 v12, v16, v13, s[4:5]
; %bb.70:
	s_or_b64 exec, exec, s[6:7]
	v_and_b32_e32 v6, 0xffff0000, v6
	v_mul_f32_e32 v13, v23, v6
	s_mov_b32 s3, 0x7f800000
	v_and_b32_e32 v6, 0x7f800000, v13
	v_cmp_ne_u32_e64 s[4:5], s3, v6
                                        ; implicit-def: $vgpr6
	s_and_saveexec_b64 s[6:7], s[4:5]
	s_xor_b64 s[4:5], exec, s[6:7]
; %bb.71:
	v_bfe_u32 v6, v13, 16, 1
	s_movk_i32 s3, 0x7fff
	v_add3_u32 v6, v13, v6, s3
                                        ; implicit-def: $vgpr13
; %bb.72:
	s_andn2_saveexec_b64 s[6:7], s[4:5]
; %bb.73:
	v_mov_b32_e32 v6, 0
	v_or_b32_e32 v16, 0x10000, v13
	v_cmp_eq_u32_sdwa s[4:5], v13, v6 src0_sel:WORD_0 src1_sel:DWORD
	s_nop 1
	v_cndmask_b32_e64 v6, v16, v13, s[4:5]
; %bb.74:
	s_or_b64 exec, exec, s[6:7]
	v_and_b32_e32 v13, 0xffff0000, v12
	v_lshlrev_b32_e32 v12, 16, v7
	v_fmac_f32_e32 v13, v12, v22
	s_mov_b32 s3, 0x7f800000
	v_and_b32_e32 v12, 0x7f800000, v13
	v_cmp_ne_u32_e64 s[4:5], s3, v12
                                        ; implicit-def: $vgpr12
	s_and_saveexec_b64 s[6:7], s[4:5]
	s_xor_b64 s[4:5], exec, s[6:7]
; %bb.75:
	v_bfe_u32 v12, v13, 16, 1
	s_movk_i32 s3, 0x7fff
	v_add3_u32 v12, v13, v12, s3
                                        ; implicit-def: $vgpr13
; %bb.76:
	s_andn2_saveexec_b64 s[6:7], s[4:5]
; %bb.77:
	v_mov_b32_e32 v12, 0
	v_or_b32_e32 v16, 0x10000, v13
	v_cmp_eq_u32_sdwa s[4:5], v13, v12 src0_sel:WORD_0 src1_sel:DWORD
	s_nop 1
	v_cndmask_b32_e64 v12, v16, v13, s[4:5]
; %bb.78:
	s_or_b64 exec, exec, s[6:7]
	v_and_b32_e32 v13, 0xffff0000, v6
	v_and_b32_e32 v6, 0xffff0000, v7
	v_fmac_f32_e32 v13, v6, v21
	s_mov_b32 s3, 0x7f800000
	v_and_b32_e32 v6, 0x7f800000, v13
	v_cmp_ne_u32_e64 s[4:5], s3, v6
                                        ; implicit-def: $vgpr6
	s_and_saveexec_b64 s[6:7], s[4:5]
	s_xor_b64 s[4:5], exec, s[6:7]
; %bb.79:
	v_bfe_u32 v6, v13, 16, 1
	s_movk_i32 s3, 0x7fff
	v_add3_u32 v6, v13, v6, s3
                                        ; implicit-def: $vgpr13
; %bb.80:
	s_andn2_saveexec_b64 s[6:7], s[4:5]
; %bb.81:
	v_mov_b32_e32 v6, 0
	v_or_b32_e32 v7, 0x10000, v13
	v_cmp_eq_u32_sdwa s[4:5], v13, v6 src0_sel:WORD_0 src1_sel:DWORD
	s_nop 1
	v_cndmask_b32_e64 v6, v7, v13, s[4:5]
; %bb.82:
	s_or_b64 exec, exec, s[6:7]
	v_and_b32_e32 v12, 0xffff0000, v12
	v_lshlrev_b32_e32 v7, 16, v8
	v_fmac_f32_e32 v12, v7, v20
	s_mov_b32 s3, 0x7f800000
	v_and_b32_e32 v7, 0x7f800000, v12
	v_cmp_ne_u32_e64 s[4:5], s3, v7
                                        ; implicit-def: $vgpr7
	s_and_saveexec_b64 s[6:7], s[4:5]
	s_xor_b64 s[4:5], exec, s[6:7]
; %bb.83:
	v_bfe_u32 v7, v12, 16, 1
	s_movk_i32 s3, 0x7fff
	v_add3_u32 v7, v12, v7, s3
                                        ; implicit-def: $vgpr12
; %bb.84:
	s_andn2_saveexec_b64 s[6:7], s[4:5]
; %bb.85:
	v_mov_b32_e32 v7, 0
	v_or_b32_e32 v13, 0x10000, v12
	v_cmp_eq_u32_sdwa s[4:5], v12, v7 src0_sel:WORD_0 src1_sel:DWORD
	s_nop 1
	v_cndmask_b32_e64 v7, v13, v12, s[4:5]
; %bb.86:
	s_or_b64 exec, exec, s[6:7]
	v_and_b32_e32 v6, 0xffff0000, v6
	v_and_b32_e32 v8, 0xffff0000, v8
	v_fmac_f32_e32 v6, v8, v19
	s_mov_b32 s3, 0x7f800000
	v_and_b32_e32 v8, 0x7f800000, v6
	v_cmp_ne_u32_e64 s[4:5], s3, v8
                                        ; implicit-def: $vgpr8
	s_and_saveexec_b64 s[6:7], s[4:5]
	s_xor_b64 s[4:5], exec, s[6:7]
; %bb.87:
	v_bfe_u32 v8, v6, 16, 1
	s_movk_i32 s3, 0x7fff
	v_add3_u32 v8, v6, v8, s3
                                        ; implicit-def: $vgpr6
; %bb.88:
	s_andn2_saveexec_b64 s[6:7], s[4:5]
; %bb.89:
	v_mov_b32_e32 v8, 0
	v_or_b32_e32 v12, 0x10000, v6
	v_cmp_eq_u32_sdwa s[4:5], v6, v8 src0_sel:WORD_0 src1_sel:DWORD
	s_nop 1
	v_cndmask_b32_e64 v8, v12, v6, s[4:5]
; %bb.90:
	s_or_b64 exec, exec, s[6:7]
	v_and_b32_e32 v7, 0xffff0000, v7
	v_lshlrev_b32_e32 v6, 16, v9
	v_fmac_f32_e32 v7, v6, v18
	s_mov_b32 s3, 0x7f800000
	v_and_b32_e32 v6, 0x7f800000, v7
	v_cmp_ne_u32_e64 s[4:5], s3, v6
                                        ; implicit-def: $vgpr6
	s_and_saveexec_b64 s[6:7], s[4:5]
	s_xor_b64 s[4:5], exec, s[6:7]
; %bb.91:
	v_bfe_u32 v6, v7, 16, 1
	s_movk_i32 s3, 0x7fff
	v_add3_u32 v6, v7, v6, s3
                                        ; implicit-def: $vgpr7
; %bb.92:
	s_andn2_saveexec_b64 s[6:7], s[4:5]
; %bb.93:
	v_mov_b32_e32 v6, 0
	v_or_b32_e32 v12, 0x10000, v7
	v_cmp_eq_u32_sdwa s[4:5], v7, v6 src0_sel:WORD_0 src1_sel:DWORD
	s_nop 1
	v_cndmask_b32_e64 v6, v12, v7, s[4:5]
; %bb.94:
	s_or_b64 exec, exec, s[6:7]
	v_and_b32_e32 v8, 0xffff0000, v8
	v_and_b32_e32 v7, 0xffff0000, v9
	v_fmac_f32_e32 v8, v7, v1
	s_mov_b32 s3, 0x7f800000
	v_and_b32_e32 v7, 0x7f800000, v8
	v_cmp_ne_u32_e64 s[4:5], s3, v7
                                        ; implicit-def: $vgpr7
	s_and_saveexec_b64 s[6:7], s[4:5]
	s_xor_b64 s[4:5], exec, s[6:7]
; %bb.95:
	v_bfe_u32 v7, v8, 16, 1
	s_movk_i32 s3, 0x7fff
	v_add3_u32 v7, v8, v7, s3
                                        ; implicit-def: $vgpr8
; %bb.96:
	s_andn2_saveexec_b64 s[6:7], s[4:5]
; %bb.97:
	v_mov_b32_e32 v7, 0
	v_or_b32_e32 v9, 0x10000, v8
	v_cmp_eq_u32_sdwa s[4:5], v8, v7 src0_sel:WORD_0 src1_sel:DWORD
	s_nop 1
	v_cndmask_b32_e64 v7, v9, v8, s[4:5]
; %bb.98:
	s_or_b64 exec, exec, s[6:7]
	s_waitcnt vmcnt(0)
	v_lshlrev_b32_e32 v8, 16, v2
	v_mul_f32_e32 v9, v24, v8
	s_mov_b32 s3, 0x7f800000
	v_and_b32_e32 v8, 0x7f800000, v9
	v_cmp_ne_u32_e64 s[4:5], s3, v8
                                        ; implicit-def: $vgpr8
	s_and_saveexec_b64 s[6:7], s[4:5]
	s_xor_b64 s[4:5], exec, s[6:7]
; %bb.99:
	v_bfe_u32 v8, v9, 16, 1
	s_movk_i32 s3, 0x7fff
	v_add3_u32 v8, v9, v8, s3
                                        ; implicit-def: $vgpr9
; %bb.100:
	s_andn2_saveexec_b64 s[6:7], s[4:5]
; %bb.101:
	v_mov_b32_e32 v8, 0
	v_or_b32_e32 v12, 0x10000, v9
	v_cmp_eq_u32_sdwa s[4:5], v9, v8 src0_sel:WORD_0 src1_sel:DWORD
	s_nop 1
	v_cndmask_b32_e64 v8, v12, v9, s[4:5]
; %bb.102:
	s_or_b64 exec, exec, s[6:7]
	v_and_b32_e32 v2, 0xffff0000, v2
	v_mul_f32_e32 v9, v23, v2
	s_mov_b32 s3, 0x7f800000
	v_and_b32_e32 v2, 0x7f800000, v9
	v_cmp_ne_u32_e64 s[4:5], s3, v2
                                        ; implicit-def: $vgpr2
	s_and_saveexec_b64 s[6:7], s[4:5]
	s_xor_b64 s[4:5], exec, s[6:7]
; %bb.103:
	v_bfe_u32 v2, v9, 16, 1
	s_movk_i32 s3, 0x7fff
	v_add3_u32 v2, v9, v2, s3
                                        ; implicit-def: $vgpr9
; %bb.104:
	s_andn2_saveexec_b64 s[6:7], s[4:5]
; %bb.105:
	v_mov_b32_e32 v2, 0
	v_or_b32_e32 v12, 0x10000, v9
	v_cmp_eq_u32_sdwa s[4:5], v9, v2 src0_sel:WORD_0 src1_sel:DWORD
	s_nop 1
	v_cndmask_b32_e64 v2, v12, v9, s[4:5]
; %bb.106:
	s_or_b64 exec, exec, s[6:7]
	v_and_b32_e32 v9, 0xffff0000, v8
	v_lshlrev_b32_e32 v8, 16, v3
	v_fmac_f32_e32 v9, v8, v22
	s_mov_b32 s3, 0x7f800000
	v_and_b32_e32 v8, 0x7f800000, v9
	v_cmp_ne_u32_e64 s[4:5], s3, v8
                                        ; implicit-def: $vgpr8
	s_and_saveexec_b64 s[6:7], s[4:5]
	s_xor_b64 s[4:5], exec, s[6:7]
; %bb.107:
	v_bfe_u32 v8, v9, 16, 1
	s_movk_i32 s3, 0x7fff
	v_add3_u32 v8, v9, v8, s3
                                        ; implicit-def: $vgpr9
; %bb.108:
	s_andn2_saveexec_b64 s[6:7], s[4:5]
; %bb.109:
	v_mov_b32_e32 v8, 0
	v_or_b32_e32 v12, 0x10000, v9
	v_cmp_eq_u32_sdwa s[4:5], v9, v8 src0_sel:WORD_0 src1_sel:DWORD
	s_nop 1
	v_cndmask_b32_e64 v8, v12, v9, s[4:5]
; %bb.110:
	s_or_b64 exec, exec, s[6:7]
	v_and_b32_e32 v9, 0xffff0000, v2
	v_and_b32_e32 v2, 0xffff0000, v3
	v_fmac_f32_e32 v9, v2, v21
	s_mov_b32 s3, 0x7f800000
	v_and_b32_e32 v2, 0x7f800000, v9
	v_cmp_ne_u32_e64 s[4:5], s3, v2
                                        ; implicit-def: $vgpr2
	s_and_saveexec_b64 s[6:7], s[4:5]
	s_xor_b64 s[4:5], exec, s[6:7]
; %bb.111:
	v_bfe_u32 v2, v9, 16, 1
	s_movk_i32 s3, 0x7fff
	v_add3_u32 v2, v9, v2, s3
                                        ; implicit-def: $vgpr9
; %bb.112:
	s_andn2_saveexec_b64 s[6:7], s[4:5]
; %bb.113:
	v_mov_b32_e32 v2, 0
	v_or_b32_e32 v3, 0x10000, v9
	v_cmp_eq_u32_sdwa s[4:5], v9, v2 src0_sel:WORD_0 src1_sel:DWORD
	s_nop 1
	v_cndmask_b32_e64 v2, v3, v9, s[4:5]
; %bb.114:
	s_or_b64 exec, exec, s[6:7]
	v_and_b32_e32 v8, 0xffff0000, v8
	v_lshlrev_b32_e32 v3, 16, v4
	v_fmac_f32_e32 v8, v3, v20
	s_mov_b32 s3, 0x7f800000
	v_and_b32_e32 v3, 0x7f800000, v8
	v_cmp_ne_u32_e64 s[4:5], s3, v3
                                        ; implicit-def: $vgpr3
	s_and_saveexec_b64 s[6:7], s[4:5]
	s_xor_b64 s[4:5], exec, s[6:7]
; %bb.115:
	v_bfe_u32 v3, v8, 16, 1
	s_movk_i32 s3, 0x7fff
	v_add3_u32 v3, v8, v3, s3
                                        ; implicit-def: $vgpr8
; %bb.116:
	s_andn2_saveexec_b64 s[6:7], s[4:5]
; %bb.117:
	v_mov_b32_e32 v3, 0
	v_or_b32_e32 v9, 0x10000, v8
	v_cmp_eq_u32_sdwa s[4:5], v8, v3 src0_sel:WORD_0 src1_sel:DWORD
	s_nop 1
	v_cndmask_b32_e64 v3, v9, v8, s[4:5]
; %bb.118:
	s_or_b64 exec, exec, s[6:7]
	v_and_b32_e32 v2, 0xffff0000, v2
	v_and_b32_e32 v4, 0xffff0000, v4
	v_fmac_f32_e32 v2, v4, v19
	s_mov_b32 s3, 0x7f800000
	v_and_b32_e32 v4, 0x7f800000, v2
	v_cmp_ne_u32_e64 s[4:5], s3, v4
                                        ; implicit-def: $vgpr4
	s_and_saveexec_b64 s[6:7], s[4:5]
	s_xor_b64 s[4:5], exec, s[6:7]
; %bb.119:
	v_bfe_u32 v4, v2, 16, 1
	s_movk_i32 s3, 0x7fff
	v_add3_u32 v4, v2, v4, s3
                                        ; implicit-def: $vgpr2
; %bb.120:
	s_andn2_saveexec_b64 s[6:7], s[4:5]
; %bb.121:
	v_mov_b32_e32 v4, 0
	v_or_b32_e32 v8, 0x10000, v2
	v_cmp_eq_u32_sdwa s[4:5], v2, v4 src0_sel:WORD_0 src1_sel:DWORD
	s_nop 1
	v_cndmask_b32_e64 v4, v8, v2, s[4:5]
; %bb.122:
	s_or_b64 exec, exec, s[6:7]
	v_and_b32_e32 v3, 0xffff0000, v3
	v_lshlrev_b32_e32 v2, 16, v5
	v_fmac_f32_e32 v3, v2, v18
	s_mov_b32 s3, 0x7f800000
	v_and_b32_e32 v2, 0x7f800000, v3
	v_cmp_ne_u32_e64 s[4:5], s3, v2
                                        ; implicit-def: $vgpr2
	s_and_saveexec_b64 s[6:7], s[4:5]
	s_xor_b64 s[4:5], exec, s[6:7]
; %bb.123:
	v_bfe_u32 v2, v3, 16, 1
	s_movk_i32 s3, 0x7fff
	v_add3_u32 v2, v3, v2, s3
                                        ; implicit-def: $vgpr3
; %bb.124:
	s_andn2_saveexec_b64 s[6:7], s[4:5]
; %bb.125:
	v_mov_b32_e32 v2, 0
	v_or_b32_e32 v8, 0x10000, v3
	v_cmp_eq_u32_sdwa s[4:5], v3, v2 src0_sel:WORD_0 src1_sel:DWORD
	s_nop 1
	v_cndmask_b32_e64 v2, v8, v3, s[4:5]
; %bb.126:
	s_or_b64 exec, exec, s[6:7]
	v_and_b32_e32 v3, 0xffff0000, v4
	v_and_b32_e32 v4, 0xffff0000, v5
	v_fmac_f32_e32 v3, v4, v1
	s_mov_b32 s3, 0x7f800000
	v_and_b32_e32 v1, 0x7f800000, v3
	v_cmp_ne_u32_e64 s[4:5], s3, v1
                                        ; implicit-def: $vgpr1
	s_and_saveexec_b64 s[6:7], s[4:5]
	s_xor_b64 s[4:5], exec, s[6:7]
; %bb.127:
	v_bfe_u32 v1, v3, 16, 1
	s_movk_i32 s3, 0x7fff
	v_add3_u32 v1, v3, v1, s3
                                        ; implicit-def: $vgpr3
; %bb.128:
	s_andn2_saveexec_b64 s[6:7], s[4:5]
; %bb.129:
	v_mov_b32_e32 v1, 0
	v_or_b32_e32 v4, 0x10000, v3
	v_cmp_eq_u32_sdwa s[4:5], v3, v1 src0_sel:WORD_0 src1_sel:DWORD
	s_nop 1
	v_cndmask_b32_e64 v1, v4, v3, s[4:5]
; %bb.130:
	s_or_b64 exec, exec, s[6:7]
	v_and_b32_e32 v3, 0xffff0000, v6
	v_and_b32_e32 v4, 0xffff0000, v7
	v_add_f32_e32 v3, v3, v4
	v_cndmask_b32_e32 v4, 0, v3, vcc
	v_and_b32_e32 v3, 0xffff0000, v10
	v_and_b32_e32 v5, 0xffff0000, v11
	v_add_f32_e32 v3, v3, v5
	v_cndmask_b32_e32 v9, 0, v3, vcc
	;; [unrolled: 4-line block ×3, first 2 shown]
	v_and_b32_e32 v3, 0xffff0000, v1
	v_mbcnt_lo_u32_b32 v1, -1, 0
	v_mbcnt_hi_u32_b32 v14, -1, v1
	v_and_b32_e32 v2, 0xffff0000, v2
	v_mov_b32_e32 v6, v3
	v_and_b32_e32 v1, 64, v14
	v_pk_add_f32 v[2:3], v[6:7], v[2:3] op_sel_hi:[0,1]
	v_add_u32_e32 v15, 64, v1
	v_xor_b32_e32 v1, 32, v14
	v_cndmask_b32_e32 v5, 0, v2, vcc
	v_cmp_lt_i32_e32 vcc, v1, v15
	v_xor_b32_e32 v6, 8, v14
	v_xor_b32_e32 v7, 4, v14
	v_cndmask_b32_e32 v1, v14, v1, vcc
	v_lshlrev_b32_e32 v1, 2, v1
	ds_bpermute_b32 v2, v1, v8
	ds_bpermute_b32 v3, v1, v9
	;; [unrolled: 1-line block ×4, first 2 shown]
	v_xor_b32_e32 v1, 16, v14
	v_cmp_lt_i32_e32 vcc, v1, v15
	s_waitcnt lgkmcnt(2)
	v_pk_add_f32 v[2:3], v[8:9], v[2:3]
	v_xor_b32_e32 v12, 2, v14
	v_cndmask_b32_e32 v1, v14, v1, vcc
	v_lshlrev_b32_e32 v1, 2, v1
	s_waitcnt lgkmcnt(0)
	v_pk_add_f32 v[4:5], v[4:5], v[10:11]
	ds_bpermute_b32 v8, v1, v2
	ds_bpermute_b32 v9, v1, v3
	;; [unrolled: 1-line block ×4, first 2 shown]
	v_cmp_lt_i32_e32 vcc, v6, v15
	s_waitcnt lgkmcnt(2)
	v_pk_add_f32 v[2:3], v[2:3], v[8:9]
	v_cndmask_b32_e32 v6, v14, v6, vcc
	v_lshlrev_b32_e32 v6, 2, v6
	s_waitcnt lgkmcnt(0)
	v_pk_add_f32 v[4:5], v[4:5], v[10:11]
	ds_bpermute_b32 v8, v6, v2
	ds_bpermute_b32 v9, v6, v3
	;; [unrolled: 1-line block ×4, first 2 shown]
	v_cmp_lt_i32_e32 vcc, v7, v15
	s_waitcnt lgkmcnt(2)
	v_pk_add_f32 v[2:3], v[2:3], v[8:9]
	v_cndmask_b32_e32 v7, v14, v7, vcc
	v_lshlrev_b32_e32 v7, 2, v7
	v_cmp_lt_i32_e32 vcc, v12, v15
	s_waitcnt lgkmcnt(0)
	v_pk_add_f32 v[4:5], v[4:5], v[10:11]
	ds_bpermute_b32 v13, v7, v3
	v_cndmask_b32_e32 v16, v14, v12, vcc
	ds_bpermute_b32 v12, v7, v2
	ds_bpermute_b32 v10, v7, v4
	;; [unrolled: 1-line block ×3, first 2 shown]
	v_lshlrev_b32_e32 v8, 2, v16
	v_xor_b32_e32 v9, 1, v14
	s_waitcnt lgkmcnt(2)
	v_pk_add_f32 v[2:3], v[2:3], v[12:13]
	ds_bpermute_b32 v12, v8, v2
	s_waitcnt lgkmcnt(1)
	v_pk_add_f32 v[4:5], v[4:5], v[10:11]
	ds_bpermute_b32 v13, v8, v3
	ds_bpermute_b32 v10, v8, v4
	;; [unrolled: 1-line block ×3, first 2 shown]
	v_cmp_lt_i32_e32 vcc, v9, v15
	s_waitcnt lgkmcnt(2)
	v_pk_add_f32 v[2:3], v[2:3], v[12:13]
	v_cndmask_b32_e32 v9, v14, v9, vcc
	s_waitcnt lgkmcnt(0)
	v_pk_add_f32 v[4:5], v[4:5], v[10:11]
	v_lshlrev_b32_e32 v9, 2, v9
	ds_bpermute_b32 v11, v9, v2
	ds_bpermute_b32 v14, v9, v3
	;; [unrolled: 1-line block ×4, first 2 shown]
	v_and_b32_e32 v13, 63, v0
	v_cmp_gt_u32_e32 vcc, 4, v13
	s_and_saveexec_b64 s[10:11], vcc
	s_cbranch_execz .LBB5_132
; %bb.131:
	v_cmp_eq_u32_e32 vcc, 1, v13
	v_cmp_eq_u32_e64 s[4:5], 2, v13
	v_lshrrev_b32_e32 v15, 4, v0
	s_waitcnt lgkmcnt(2)
	v_cndmask_b32_e32 v11, v11, v14, vcc
	v_cndmask_b32_e32 v2, v2, v3, vcc
	s_waitcnt lgkmcnt(1)
	v_cndmask_b32_e64 v11, v11, v12, s[4:5]
	v_cmp_eq_u32_e64 s[6:7], 3, v13
	v_cndmask_b32_e64 v2, v2, v4, s[4:5]
	v_and_b32_e32 v15, 60, v15
	s_waitcnt lgkmcnt(0)
	v_cndmask_b32_e64 v10, v11, v10, s[6:7]
	v_cndmask_b32_e64 v2, v2, v5, s[6:7]
	v_lshl_or_b32 v15, v13, 8, v15
	v_add_f32_e32 v2, v2, v10
	ds_write_b32 v15, v2
.LBB5_132:
	s_or_b64 exec, exec, s[10:11]
	v_cmp_gt_u32_e32 vcc, 64, v0
	s_waitcnt lgkmcnt(0)
	s_barrier
	s_and_saveexec_b64 s[4:5], vcc
	s_cbranch_execz .LBB5_145
; %bb.133:
	s_load_dword s0, s[0:1], 0x2c
	v_and_b32_e32 v3, 15, v0
	v_mov_b32_e32 v2, 0
	s_waitcnt lgkmcnt(0)
	s_and_b32 s0, 0xffff, s0
	s_lshr_b32 s0, s0, 6
	v_cmp_gt_u32_e32 vcc, s0, v3
	s_and_saveexec_b64 s[0:1], vcc
	s_cbranch_execz .LBB5_135
; %bb.134:
	v_lshlrev_b32_e32 v2, 2, v3
	v_lshlrev_b32_e32 v3, 4, v0
	s_movk_i32 s3, 0x3f00
	v_and_or_b32 v2, v3, s3, v2
	ds_read_b32 v2, v2
.LBB5_135:
	s_or_b64 exec, exec, s[0:1]
	s_waitcnt lgkmcnt(0)
	ds_bpermute_b32 v3, v6, v2
	s_waitcnt lgkmcnt(0)
	v_add_f32_e32 v2, v2, v3
	ds_bpermute_b32 v3, v7, v2
	s_waitcnt lgkmcnt(0)
	v_add_f32_e32 v2, v2, v3
	;; [unrolled: 3-line block ×4, first 2 shown]
	ds_bpermute_b32 v1, v1, v3
	v_and_b32_e32 v2, 31, v0
	v_cmp_eq_u32_e32 vcc, 0, v2
	s_and_b64 exec, exec, vcc
	s_cbranch_execz .LBB5_145
; %bb.136:
	s_mov_b32 s0, 0x7f800000
	v_and_b32_e32 v2, 0x7f800000, v3
	v_cmp_ne_u32_e32 vcc, s0, v2
                                        ; implicit-def: $vgpr2
	s_and_saveexec_b64 s[0:1], vcc
	s_xor_b64 s[0:1], exec, s[0:1]
; %bb.137:
	v_bfe_u32 v2, v3, 16, 1
	s_movk_i32 s3, 0x7fff
	v_add3_u32 v2, v3, v2, s3
                                        ; implicit-def: $vgpr3
; %bb.138:
	s_andn2_saveexec_b64 s[0:1], s[0:1]
; %bb.139:
	v_mov_b32_e32 v2, 0
	v_or_b32_e32 v4, 0x10000, v3
	v_cmp_eq_u32_sdwa vcc, v3, v2 src0_sel:WORD_0 src1_sel:DWORD
	s_nop 1
	v_cndmask_b32_e32 v2, v4, v3, vcc
; %bb.140:
	s_or_b64 exec, exec, s[0:1]
	s_mov_b32 s0, 0x7f800000
	s_waitcnt lgkmcnt(0)
	v_and_b32_e32 v3, 0x7f800000, v1
	v_cmp_ne_u32_e32 vcc, s0, v3
                                        ; implicit-def: $vgpr3
	s_and_saveexec_b64 s[0:1], vcc
	s_xor_b64 s[0:1], exec, s[0:1]
; %bb.141:
	v_bfe_u32 v3, v1, 16, 1
	s_movk_i32 s3, 0x7fff
	v_add3_u32 v3, v1, v3, s3
                                        ; implicit-def: $vgpr1
; %bb.142:
	s_andn2_saveexec_b64 s[0:1], s[0:1]
; %bb.143:
	v_mov_b32_e32 v3, 0
	v_or_b32_e32 v4, 0x10000, v1
	v_cmp_eq_u32_sdwa vcc, v1, v3 src0_sel:WORD_0 src1_sel:DWORD
	s_nop 1
	v_cndmask_b32_e32 v3, v4, v1, vcc
; %bb.144:
	s_or_b64 exec, exec, s[0:1]
	s_lshl_b32 s0, s2, 1
	s_and_b32 s0, s0, 0x7ffffffe
	v_lshrrev_b32_e32 v0, 5, v0
	v_mov_b32_e32 v4, s8
	v_mov_b32_e32 v5, s9
	v_or_b32_e32 v0, s0, v0
	v_mov_b32_e32 v1, 0
	s_mov_b32 s0, 0x7060302
	v_lshl_add_u64 v[0:1], v[0:1], 2, v[4:5]
	v_perm_b32 v2, v3, v2, s0
	global_store_dword v[0:1], v2, off
.LBB5_145:
	s_endpgm
	.section	.rodata,"a",@progbits
	.p2align	6, 0x0
	.amdhsa_kernel _Z14LLGemm1_kernelIN3c108BFloat16ELi4EEvPKT_S4_PS2_i
		.amdhsa_group_segment_fixed_size 1024
		.amdhsa_private_segment_fixed_size 0
		.amdhsa_kernarg_size 288
		.amdhsa_user_sgpr_count 2
		.amdhsa_user_sgpr_dispatch_ptr 0
		.amdhsa_user_sgpr_queue_ptr 0
		.amdhsa_user_sgpr_kernarg_segment_ptr 1
		.amdhsa_user_sgpr_dispatch_id 0
		.amdhsa_user_sgpr_kernarg_preload_length 0
		.amdhsa_user_sgpr_kernarg_preload_offset 0
		.amdhsa_user_sgpr_private_segment_size 0
		.amdhsa_uses_dynamic_stack 0
		.amdhsa_enable_private_segment 0
		.amdhsa_system_sgpr_workgroup_id_x 1
		.amdhsa_system_sgpr_workgroup_id_y 0
		.amdhsa_system_sgpr_workgroup_id_z 0
		.amdhsa_system_sgpr_workgroup_info 0
		.amdhsa_system_vgpr_workitem_id 0
		.amdhsa_next_free_vgpr 28
		.amdhsa_next_free_sgpr 14
		.amdhsa_accum_offset 28
		.amdhsa_reserve_vcc 1
		.amdhsa_float_round_mode_32 0
		.amdhsa_float_round_mode_16_64 0
		.amdhsa_float_denorm_mode_32 3
		.amdhsa_float_denorm_mode_16_64 3
		.amdhsa_dx10_clamp 1
		.amdhsa_ieee_mode 1
		.amdhsa_fp16_overflow 0
		.amdhsa_tg_split 0
		.amdhsa_exception_fp_ieee_invalid_op 0
		.amdhsa_exception_fp_denorm_src 0
		.amdhsa_exception_fp_ieee_div_zero 0
		.amdhsa_exception_fp_ieee_overflow 0
		.amdhsa_exception_fp_ieee_underflow 0
		.amdhsa_exception_fp_ieee_inexact 0
		.amdhsa_exception_int_div_zero 0
	.end_amdhsa_kernel
	.section	.text._Z14LLGemm1_kernelIN3c108BFloat16ELi4EEvPKT_S4_PS2_i,"axG",@progbits,_Z14LLGemm1_kernelIN3c108BFloat16ELi4EEvPKT_S4_PS2_i,comdat
.Lfunc_end5:
	.size	_Z14LLGemm1_kernelIN3c108BFloat16ELi4EEvPKT_S4_PS2_i, .Lfunc_end5-_Z14LLGemm1_kernelIN3c108BFloat16ELi4EEvPKT_S4_PS2_i
                                        ; -- End function
	.section	.AMDGPU.csdata,"",@progbits
; Kernel info:
; codeLenInByte = 4804
; NumSgprs: 20
; NumVgprs: 28
; NumAgprs: 0
; TotalNumVgprs: 28
; ScratchSize: 0
; MemoryBound: 0
; FloatMode: 240
; IeeeMode: 1
; LDSByteSize: 1024 bytes/workgroup (compile time only)
; SGPRBlocks: 2
; VGPRBlocks: 3
; NumSGPRsForWavesPerEU: 20
; NumVGPRsForWavesPerEU: 28
; AccumOffset: 28
; Occupancy: 8
; WaveLimiterHint : 0
; COMPUTE_PGM_RSRC2:SCRATCH_EN: 0
; COMPUTE_PGM_RSRC2:USER_SGPR: 2
; COMPUTE_PGM_RSRC2:TRAP_HANDLER: 0
; COMPUTE_PGM_RSRC2:TGID_X_EN: 1
; COMPUTE_PGM_RSRC2:TGID_Y_EN: 0
; COMPUTE_PGM_RSRC2:TGID_Z_EN: 0
; COMPUTE_PGM_RSRC2:TIDIG_COMP_CNT: 0
; COMPUTE_PGM_RSRC3_GFX90A:ACCUM_OFFSET: 6
; COMPUTE_PGM_RSRC3_GFX90A:TG_SPLIT: 0
	.section	.text._Z14LLGemm1_kernelIN3c108BFloat16ELi8EEvPKT_S4_PS2_i,"axG",@progbits,_Z14LLGemm1_kernelIN3c108BFloat16ELi8EEvPKT_S4_PS2_i,comdat
	.protected	_Z14LLGemm1_kernelIN3c108BFloat16ELi8EEvPKT_S4_PS2_i ; -- Begin function _Z14LLGemm1_kernelIN3c108BFloat16ELi8EEvPKT_S4_PS2_i
	.globl	_Z14LLGemm1_kernelIN3c108BFloat16ELi8EEvPKT_S4_PS2_i
	.p2align	8
	.type	_Z14LLGemm1_kernelIN3c108BFloat16ELi8EEvPKT_S4_PS2_i,@function
_Z14LLGemm1_kernelIN3c108BFloat16ELi8EEvPKT_S4_PS2_i: ; @_Z14LLGemm1_kernelIN3c108BFloat16ELi8EEvPKT_S4_PS2_i
; %bb.0:
	s_load_dword s3, s[0:1], 0x18
	s_load_dwordx4 s[4:7], s[0:1], 0x0
	s_load_dwordx2 s[8:9], s[0:1], 0x10
	v_lshlrev_b32_e32 v1, 3, v0
	s_mov_b32 s13, 0
	s_waitcnt lgkmcnt(0)
	v_cmp_gt_i32_e32 vcc, s3, v1
	v_mov_b32_e32 v34, 0
	v_mov_b32_e32 v1, 0
	v_mov_b32_e32 v36, 0
	v_mov_b32_e32 v35, 0
	v_mov_b32_e32 v38, 0
	v_mov_b32_e32 v37, 0
	v_mov_b32_e32 v40, 0
	v_mov_b32_e32 v39, 0
                                        ; implicit-def: $vgpr2
                                        ; implicit-def: $vgpr6
                                        ; implicit-def: $vgpr10
                                        ; implicit-def: $vgpr14
                                        ; implicit-def: $vgpr18
                                        ; implicit-def: $vgpr22
                                        ; implicit-def: $vgpr26
                                        ; implicit-def: $vgpr30
	s_and_saveexec_b64 s[10:11], vcc
	s_cbranch_execz .LBB6_2
; %bb.1:
	s_mul_i32 s12, s2, s3
	s_and_b32 s12, s12, 0x1fffffff
	v_add_u32_e32 v2, s12, v0
	s_lshr_b32 s12, s3, 3
	v_mov_b32_e32 v3, 0
	s_add_i32 s3, s12, s12
	v_lshl_add_u64 v[4:5], v[2:3], 4, s[4:5]
	v_add_u32_e32 v2, s3, v2
	v_lshl_add_u64 v[6:7], s[12:13], 4, v[4:5]
	global_load_dwordx4 v[30:33], v[4:5], off nt
	global_load_dwordx4 v[26:29], v[6:7], off nt
	v_lshl_add_u64 v[4:5], v[2:3], 4, s[4:5]
	v_add_u32_e32 v2, s12, v2
	v_lshl_add_u64 v[6:7], v[2:3], 4, s[4:5]
	v_add_u32_e32 v2, s12, v2
	global_load_dwordx4 v[22:25], v[4:5], off nt
	global_load_dwordx4 v[18:21], v[6:7], off nt
	v_lshl_add_u64 v[4:5], v[2:3], 4, s[4:5]
	v_add_u32_e32 v2, s12, v2
	v_lshl_add_u64 v[6:7], v[2:3], 4, s[4:5]
	v_add_u32_e32 v2, s12, v2
	v_lshlrev_b32_e32 v1, 4, v0
	v_lshl_add_u64 v[34:35], v[2:3], 4, s[4:5]
	v_add_u32_e32 v2, s12, v2
	global_load_dwordx4 v[40:43], v1, s[6:7]
	global_load_dwordx4 v[14:17], v[4:5], off nt
	global_load_dwordx4 v[10:13], v[6:7], off nt
	v_lshl_add_u64 v[36:37], v[2:3], 4, s[4:5]
	global_load_dwordx4 v[6:9], v[34:35], off nt
	global_load_dwordx4 v[2:5], v[36:37], off nt
	s_waitcnt vmcnt(4)
	v_and_b32_e32 v39, 0xffff0000, v40
	v_lshlrev_b32_e32 v40, 16, v40
	v_and_b32_e32 v37, 0xffff0000, v41
	v_lshlrev_b32_e32 v38, 16, v41
	;; [unrolled: 2-line block ×4, first 2 shown]
.LBB6_2:
	s_or_b64 exec, exec, s[10:11]
	v_lshlrev_b32_e32 v41, 16, v30
	v_mul_f32_e32 v42, v40, v41
	s_mov_b32 s3, 0x7f800000
	v_and_b32_e32 v41, 0x7f800000, v42
	v_cmp_ne_u32_e64 s[4:5], s3, v41
                                        ; implicit-def: $vgpr41
	s_and_saveexec_b64 s[6:7], s[4:5]
	s_xor_b64 s[4:5], exec, s[6:7]
; %bb.3:
	v_bfe_u32 v41, v42, 16, 1
	s_movk_i32 s3, 0x7fff
	v_add3_u32 v41, v42, v41, s3
                                        ; implicit-def: $vgpr42
; %bb.4:
	s_andn2_saveexec_b64 s[6:7], s[4:5]
; %bb.5:
	v_mov_b32_e32 v41, 0
	v_or_b32_e32 v43, 0x10000, v42
	v_cmp_eq_u32_sdwa s[4:5], v42, v41 src0_sel:WORD_0 src1_sel:DWORD
	s_nop 1
	v_cndmask_b32_e64 v41, v43, v42, s[4:5]
; %bb.6:
	s_or_b64 exec, exec, s[6:7]
	v_and_b32_e32 v30, 0xffff0000, v30
	v_mul_f32_e32 v42, v39, v30
	s_mov_b32 s3, 0x7f800000
	v_and_b32_e32 v30, 0x7f800000, v42
	v_cmp_ne_u32_e64 s[4:5], s3, v30
                                        ; implicit-def: $vgpr30
	s_and_saveexec_b64 s[6:7], s[4:5]
	s_xor_b64 s[4:5], exec, s[6:7]
; %bb.7:
	v_bfe_u32 v30, v42, 16, 1
	s_movk_i32 s3, 0x7fff
	v_add3_u32 v30, v42, v30, s3
                                        ; implicit-def: $vgpr42
; %bb.8:
	s_andn2_saveexec_b64 s[6:7], s[4:5]
; %bb.9:
	v_mov_b32_e32 v30, 0
	v_or_b32_e32 v43, 0x10000, v42
	v_cmp_eq_u32_sdwa s[4:5], v42, v30 src0_sel:WORD_0 src1_sel:DWORD
	s_nop 1
	v_cndmask_b32_e64 v30, v43, v42, s[4:5]
; %bb.10:
	s_or_b64 exec, exec, s[6:7]
	v_and_b32_e32 v42, 0xffff0000, v41
	v_lshlrev_b32_e32 v41, 16, v31
	v_fmac_f32_e32 v42, v41, v38
	s_mov_b32 s3, 0x7f800000
	v_and_b32_e32 v41, 0x7f800000, v42
	v_cmp_ne_u32_e64 s[4:5], s3, v41
                                        ; implicit-def: $vgpr41
	s_and_saveexec_b64 s[6:7], s[4:5]
	s_xor_b64 s[4:5], exec, s[6:7]
; %bb.11:
	v_bfe_u32 v41, v42, 16, 1
	s_movk_i32 s3, 0x7fff
	v_add3_u32 v41, v42, v41, s3
                                        ; implicit-def: $vgpr42
; %bb.12:
	s_andn2_saveexec_b64 s[6:7], s[4:5]
; %bb.13:
	v_mov_b32_e32 v41, 0
	v_or_b32_e32 v43, 0x10000, v42
	v_cmp_eq_u32_sdwa s[4:5], v42, v41 src0_sel:WORD_0 src1_sel:DWORD
	s_nop 1
	v_cndmask_b32_e64 v41, v43, v42, s[4:5]
; %bb.14:
	s_or_b64 exec, exec, s[6:7]
	v_and_b32_e32 v42, 0xffff0000, v30
	v_and_b32_e32 v30, 0xffff0000, v31
	v_fmac_f32_e32 v42, v30, v37
	s_mov_b32 s3, 0x7f800000
	v_and_b32_e32 v30, 0x7f800000, v42
	v_cmp_ne_u32_e64 s[4:5], s3, v30
                                        ; implicit-def: $vgpr30
	s_and_saveexec_b64 s[6:7], s[4:5]
	s_xor_b64 s[4:5], exec, s[6:7]
; %bb.15:
	v_bfe_u32 v30, v42, 16, 1
	s_movk_i32 s3, 0x7fff
	v_add3_u32 v30, v42, v30, s3
                                        ; implicit-def: $vgpr42
; %bb.16:
	s_andn2_saveexec_b64 s[6:7], s[4:5]
; %bb.17:
	v_mov_b32_e32 v30, 0
	v_or_b32_e32 v31, 0x10000, v42
	v_cmp_eq_u32_sdwa s[4:5], v42, v30 src0_sel:WORD_0 src1_sel:DWORD
	s_nop 1
	v_cndmask_b32_e64 v30, v31, v42, s[4:5]
; %bb.18:
	s_or_b64 exec, exec, s[6:7]
	v_and_b32_e32 v41, 0xffff0000, v41
	v_lshlrev_b32_e32 v31, 16, v32
	v_fmac_f32_e32 v41, v31, v36
	s_mov_b32 s3, 0x7f800000
	v_and_b32_e32 v31, 0x7f800000, v41
	v_cmp_ne_u32_e64 s[4:5], s3, v31
                                        ; implicit-def: $vgpr31
	s_and_saveexec_b64 s[6:7], s[4:5]
	s_xor_b64 s[4:5], exec, s[6:7]
; %bb.19:
	v_bfe_u32 v31, v41, 16, 1
	s_movk_i32 s3, 0x7fff
	v_add3_u32 v31, v41, v31, s3
                                        ; implicit-def: $vgpr41
; %bb.20:
	s_andn2_saveexec_b64 s[6:7], s[4:5]
; %bb.21:
	v_mov_b32_e32 v31, 0
	v_or_b32_e32 v42, 0x10000, v41
	v_cmp_eq_u32_sdwa s[4:5], v41, v31 src0_sel:WORD_0 src1_sel:DWORD
	s_nop 1
	v_cndmask_b32_e64 v31, v42, v41, s[4:5]
; %bb.22:
	s_or_b64 exec, exec, s[6:7]
	v_and_b32_e32 v30, 0xffff0000, v30
	v_and_b32_e32 v32, 0xffff0000, v32
	v_fmac_f32_e32 v30, v32, v35
	s_mov_b32 s3, 0x7f800000
	v_and_b32_e32 v32, 0x7f800000, v30
	v_cmp_ne_u32_e64 s[4:5], s3, v32
                                        ; implicit-def: $vgpr32
	s_and_saveexec_b64 s[6:7], s[4:5]
	s_xor_b64 s[4:5], exec, s[6:7]
; %bb.23:
	v_bfe_u32 v32, v30, 16, 1
	s_movk_i32 s3, 0x7fff
	v_add3_u32 v32, v30, v32, s3
                                        ; implicit-def: $vgpr30
; %bb.24:
	s_andn2_saveexec_b64 s[6:7], s[4:5]
; %bb.25:
	v_mov_b32_e32 v32, 0
	v_or_b32_e32 v41, 0x10000, v30
	v_cmp_eq_u32_sdwa s[4:5], v30, v32 src0_sel:WORD_0 src1_sel:DWORD
	s_nop 1
	v_cndmask_b32_e64 v32, v41, v30, s[4:5]
; %bb.26:
	s_or_b64 exec, exec, s[6:7]
	v_and_b32_e32 v31, 0xffff0000, v31
	v_lshlrev_b32_e32 v30, 16, v33
	v_fmac_f32_e32 v31, v30, v34
	s_mov_b32 s3, 0x7f800000
	v_and_b32_e32 v30, 0x7f800000, v31
	v_cmp_ne_u32_e64 s[4:5], s3, v30
                                        ; implicit-def: $vgpr30
	s_and_saveexec_b64 s[6:7], s[4:5]
	s_xor_b64 s[4:5], exec, s[6:7]
; %bb.27:
	v_bfe_u32 v30, v31, 16, 1
	s_movk_i32 s3, 0x7fff
	v_add3_u32 v30, v31, v30, s3
                                        ; implicit-def: $vgpr31
; %bb.28:
	s_andn2_saveexec_b64 s[6:7], s[4:5]
; %bb.29:
	v_mov_b32_e32 v30, 0
	v_or_b32_e32 v41, 0x10000, v31
	v_cmp_eq_u32_sdwa s[4:5], v31, v30 src0_sel:WORD_0 src1_sel:DWORD
	s_nop 1
	v_cndmask_b32_e64 v30, v41, v31, s[4:5]
; %bb.30:
	s_or_b64 exec, exec, s[6:7]
	v_and_b32_e32 v32, 0xffff0000, v32
	v_and_b32_e32 v31, 0xffff0000, v33
	v_fmac_f32_e32 v32, v31, v1
	s_mov_b32 s3, 0x7f800000
	v_and_b32_e32 v31, 0x7f800000, v32
	v_cmp_ne_u32_e64 s[4:5], s3, v31
                                        ; implicit-def: $vgpr31
	s_and_saveexec_b64 s[6:7], s[4:5]
	s_xor_b64 s[4:5], exec, s[6:7]
; %bb.31:
	v_bfe_u32 v31, v32, 16, 1
	s_movk_i32 s3, 0x7fff
	v_add3_u32 v31, v32, v31, s3
                                        ; implicit-def: $vgpr32
; %bb.32:
	s_andn2_saveexec_b64 s[6:7], s[4:5]
; %bb.33:
	v_mov_b32_e32 v31, 0
	v_or_b32_e32 v33, 0x10000, v32
	v_cmp_eq_u32_sdwa s[4:5], v32, v31 src0_sel:WORD_0 src1_sel:DWORD
	s_nop 1
	v_cndmask_b32_e64 v31, v33, v32, s[4:5]
; %bb.34:
	s_or_b64 exec, exec, s[6:7]
	v_lshlrev_b32_e32 v32, 16, v26
	v_mul_f32_e32 v33, v40, v32
	s_mov_b32 s3, 0x7f800000
	v_and_b32_e32 v32, 0x7f800000, v33
	v_cmp_ne_u32_e64 s[4:5], s3, v32
                                        ; implicit-def: $vgpr32
	s_and_saveexec_b64 s[6:7], s[4:5]
	s_xor_b64 s[4:5], exec, s[6:7]
; %bb.35:
	v_bfe_u32 v32, v33, 16, 1
	s_movk_i32 s3, 0x7fff
	v_add3_u32 v32, v33, v32, s3
                                        ; implicit-def: $vgpr33
; %bb.36:
	s_andn2_saveexec_b64 s[6:7], s[4:5]
; %bb.37:
	v_mov_b32_e32 v32, 0
	v_or_b32_e32 v41, 0x10000, v33
	v_cmp_eq_u32_sdwa s[4:5], v33, v32 src0_sel:WORD_0 src1_sel:DWORD
	s_nop 1
	v_cndmask_b32_e64 v32, v41, v33, s[4:5]
; %bb.38:
	s_or_b64 exec, exec, s[6:7]
	v_and_b32_e32 v26, 0xffff0000, v26
	v_mul_f32_e32 v33, v39, v26
	s_mov_b32 s3, 0x7f800000
	v_and_b32_e32 v26, 0x7f800000, v33
	v_cmp_ne_u32_e64 s[4:5], s3, v26
                                        ; implicit-def: $vgpr26
	s_and_saveexec_b64 s[6:7], s[4:5]
	s_xor_b64 s[4:5], exec, s[6:7]
; %bb.39:
	v_bfe_u32 v26, v33, 16, 1
	s_movk_i32 s3, 0x7fff
	v_add3_u32 v26, v33, v26, s3
                                        ; implicit-def: $vgpr33
; %bb.40:
	s_andn2_saveexec_b64 s[6:7], s[4:5]
; %bb.41:
	v_mov_b32_e32 v26, 0
	v_or_b32_e32 v41, 0x10000, v33
	v_cmp_eq_u32_sdwa s[4:5], v33, v26 src0_sel:WORD_0 src1_sel:DWORD
	s_nop 1
	v_cndmask_b32_e64 v26, v41, v33, s[4:5]
; %bb.42:
	s_or_b64 exec, exec, s[6:7]
	v_and_b32_e32 v33, 0xffff0000, v32
	v_lshlrev_b32_e32 v32, 16, v27
	v_fmac_f32_e32 v33, v32, v38
	s_mov_b32 s3, 0x7f800000
	v_and_b32_e32 v32, 0x7f800000, v33
	v_cmp_ne_u32_e64 s[4:5], s3, v32
                                        ; implicit-def: $vgpr32
	s_and_saveexec_b64 s[6:7], s[4:5]
	s_xor_b64 s[4:5], exec, s[6:7]
; %bb.43:
	v_bfe_u32 v32, v33, 16, 1
	s_movk_i32 s3, 0x7fff
	v_add3_u32 v32, v33, v32, s3
                                        ; implicit-def: $vgpr33
; %bb.44:
	s_andn2_saveexec_b64 s[6:7], s[4:5]
; %bb.45:
	v_mov_b32_e32 v32, 0
	v_or_b32_e32 v41, 0x10000, v33
	v_cmp_eq_u32_sdwa s[4:5], v33, v32 src0_sel:WORD_0 src1_sel:DWORD
	s_nop 1
	v_cndmask_b32_e64 v32, v41, v33, s[4:5]
; %bb.46:
	s_or_b64 exec, exec, s[6:7]
	v_and_b32_e32 v33, 0xffff0000, v26
	v_and_b32_e32 v26, 0xffff0000, v27
	v_fmac_f32_e32 v33, v26, v37
	s_mov_b32 s3, 0x7f800000
	v_and_b32_e32 v26, 0x7f800000, v33
	v_cmp_ne_u32_e64 s[4:5], s3, v26
                                        ; implicit-def: $vgpr26
	s_and_saveexec_b64 s[6:7], s[4:5]
	s_xor_b64 s[4:5], exec, s[6:7]
; %bb.47:
	v_bfe_u32 v26, v33, 16, 1
	s_movk_i32 s3, 0x7fff
	v_add3_u32 v26, v33, v26, s3
                                        ; implicit-def: $vgpr33
; %bb.48:
	s_andn2_saveexec_b64 s[6:7], s[4:5]
; %bb.49:
	v_mov_b32_e32 v26, 0
	v_or_b32_e32 v27, 0x10000, v33
	v_cmp_eq_u32_sdwa s[4:5], v33, v26 src0_sel:WORD_0 src1_sel:DWORD
	s_nop 1
	v_cndmask_b32_e64 v26, v27, v33, s[4:5]
; %bb.50:
	s_or_b64 exec, exec, s[6:7]
	v_and_b32_e32 v32, 0xffff0000, v32
	v_lshlrev_b32_e32 v27, 16, v28
	v_fmac_f32_e32 v32, v27, v36
	s_mov_b32 s3, 0x7f800000
	v_and_b32_e32 v27, 0x7f800000, v32
	v_cmp_ne_u32_e64 s[4:5], s3, v27
                                        ; implicit-def: $vgpr27
	s_and_saveexec_b64 s[6:7], s[4:5]
	s_xor_b64 s[4:5], exec, s[6:7]
; %bb.51:
	v_bfe_u32 v27, v32, 16, 1
	s_movk_i32 s3, 0x7fff
	v_add3_u32 v27, v32, v27, s3
                                        ; implicit-def: $vgpr32
; %bb.52:
	s_andn2_saveexec_b64 s[6:7], s[4:5]
; %bb.53:
	v_mov_b32_e32 v27, 0
	v_or_b32_e32 v33, 0x10000, v32
	v_cmp_eq_u32_sdwa s[4:5], v32, v27 src0_sel:WORD_0 src1_sel:DWORD
	s_nop 1
	v_cndmask_b32_e64 v27, v33, v32, s[4:5]
; %bb.54:
	s_or_b64 exec, exec, s[6:7]
	v_and_b32_e32 v26, 0xffff0000, v26
	v_and_b32_e32 v28, 0xffff0000, v28
	v_fmac_f32_e32 v26, v28, v35
	s_mov_b32 s3, 0x7f800000
	v_and_b32_e32 v28, 0x7f800000, v26
	v_cmp_ne_u32_e64 s[4:5], s3, v28
                                        ; implicit-def: $vgpr28
	s_and_saveexec_b64 s[6:7], s[4:5]
	s_xor_b64 s[4:5], exec, s[6:7]
; %bb.55:
	v_bfe_u32 v28, v26, 16, 1
	s_movk_i32 s3, 0x7fff
	v_add3_u32 v28, v26, v28, s3
                                        ; implicit-def: $vgpr26
; %bb.56:
	s_andn2_saveexec_b64 s[6:7], s[4:5]
; %bb.57:
	v_mov_b32_e32 v28, 0
	v_or_b32_e32 v32, 0x10000, v26
	v_cmp_eq_u32_sdwa s[4:5], v26, v28 src0_sel:WORD_0 src1_sel:DWORD
	s_nop 1
	v_cndmask_b32_e64 v28, v32, v26, s[4:5]
; %bb.58:
	s_or_b64 exec, exec, s[6:7]
	v_and_b32_e32 v27, 0xffff0000, v27
	v_lshlrev_b32_e32 v26, 16, v29
	v_fmac_f32_e32 v27, v26, v34
	s_mov_b32 s3, 0x7f800000
	v_and_b32_e32 v26, 0x7f800000, v27
	v_cmp_ne_u32_e64 s[4:5], s3, v26
                                        ; implicit-def: $vgpr26
	s_and_saveexec_b64 s[6:7], s[4:5]
	s_xor_b64 s[4:5], exec, s[6:7]
; %bb.59:
	v_bfe_u32 v26, v27, 16, 1
	s_movk_i32 s3, 0x7fff
	v_add3_u32 v26, v27, v26, s3
                                        ; implicit-def: $vgpr27
; %bb.60:
	s_andn2_saveexec_b64 s[6:7], s[4:5]
; %bb.61:
	v_mov_b32_e32 v26, 0
	v_or_b32_e32 v32, 0x10000, v27
	v_cmp_eq_u32_sdwa s[4:5], v27, v26 src0_sel:WORD_0 src1_sel:DWORD
	s_nop 1
	v_cndmask_b32_e64 v26, v32, v27, s[4:5]
; %bb.62:
	s_or_b64 exec, exec, s[6:7]
	v_and_b32_e32 v28, 0xffff0000, v28
	v_and_b32_e32 v27, 0xffff0000, v29
	v_fmac_f32_e32 v28, v27, v1
	s_mov_b32 s3, 0x7f800000
	v_and_b32_e32 v27, 0x7f800000, v28
	v_cmp_ne_u32_e64 s[4:5], s3, v27
                                        ; implicit-def: $vgpr27
	s_and_saveexec_b64 s[6:7], s[4:5]
	s_xor_b64 s[4:5], exec, s[6:7]
; %bb.63:
	v_bfe_u32 v27, v28, 16, 1
	s_movk_i32 s3, 0x7fff
	v_add3_u32 v27, v28, v27, s3
                                        ; implicit-def: $vgpr28
; %bb.64:
	s_andn2_saveexec_b64 s[6:7], s[4:5]
; %bb.65:
	v_mov_b32_e32 v27, 0
	v_or_b32_e32 v29, 0x10000, v28
	v_cmp_eq_u32_sdwa s[4:5], v28, v27 src0_sel:WORD_0 src1_sel:DWORD
	s_nop 1
	v_cndmask_b32_e64 v27, v29, v28, s[4:5]
; %bb.66:
	s_or_b64 exec, exec, s[6:7]
	v_lshlrev_b32_e32 v28, 16, v22
	v_mul_f32_e32 v29, v40, v28
	s_mov_b32 s3, 0x7f800000
	v_and_b32_e32 v28, 0x7f800000, v29
	v_cmp_ne_u32_e64 s[4:5], s3, v28
                                        ; implicit-def: $vgpr28
	s_and_saveexec_b64 s[6:7], s[4:5]
	s_xor_b64 s[4:5], exec, s[6:7]
; %bb.67:
	v_bfe_u32 v28, v29, 16, 1
	s_movk_i32 s3, 0x7fff
	v_add3_u32 v28, v29, v28, s3
                                        ; implicit-def: $vgpr29
; %bb.68:
	s_andn2_saveexec_b64 s[6:7], s[4:5]
; %bb.69:
	v_mov_b32_e32 v28, 0
	v_or_b32_e32 v32, 0x10000, v29
	v_cmp_eq_u32_sdwa s[4:5], v29, v28 src0_sel:WORD_0 src1_sel:DWORD
	s_nop 1
	v_cndmask_b32_e64 v28, v32, v29, s[4:5]
; %bb.70:
	s_or_b64 exec, exec, s[6:7]
	v_and_b32_e32 v22, 0xffff0000, v22
	v_mul_f32_e32 v29, v39, v22
	s_mov_b32 s3, 0x7f800000
	v_and_b32_e32 v22, 0x7f800000, v29
	v_cmp_ne_u32_e64 s[4:5], s3, v22
                                        ; implicit-def: $vgpr22
	s_and_saveexec_b64 s[6:7], s[4:5]
	s_xor_b64 s[4:5], exec, s[6:7]
; %bb.71:
	v_bfe_u32 v22, v29, 16, 1
	s_movk_i32 s3, 0x7fff
	v_add3_u32 v22, v29, v22, s3
                                        ; implicit-def: $vgpr29
; %bb.72:
	s_andn2_saveexec_b64 s[6:7], s[4:5]
; %bb.73:
	v_mov_b32_e32 v22, 0
	v_or_b32_e32 v32, 0x10000, v29
	v_cmp_eq_u32_sdwa s[4:5], v29, v22 src0_sel:WORD_0 src1_sel:DWORD
	s_nop 1
	v_cndmask_b32_e64 v22, v32, v29, s[4:5]
; %bb.74:
	s_or_b64 exec, exec, s[6:7]
	v_and_b32_e32 v29, 0xffff0000, v28
	v_lshlrev_b32_e32 v28, 16, v23
	v_fmac_f32_e32 v29, v28, v38
	s_mov_b32 s3, 0x7f800000
	v_and_b32_e32 v28, 0x7f800000, v29
	v_cmp_ne_u32_e64 s[4:5], s3, v28
                                        ; implicit-def: $vgpr28
	s_and_saveexec_b64 s[6:7], s[4:5]
	s_xor_b64 s[4:5], exec, s[6:7]
; %bb.75:
	v_bfe_u32 v28, v29, 16, 1
	s_movk_i32 s3, 0x7fff
	v_add3_u32 v28, v29, v28, s3
                                        ; implicit-def: $vgpr29
; %bb.76:
	s_andn2_saveexec_b64 s[6:7], s[4:5]
; %bb.77:
	v_mov_b32_e32 v28, 0
	v_or_b32_e32 v32, 0x10000, v29
	v_cmp_eq_u32_sdwa s[4:5], v29, v28 src0_sel:WORD_0 src1_sel:DWORD
	s_nop 1
	v_cndmask_b32_e64 v28, v32, v29, s[4:5]
; %bb.78:
	s_or_b64 exec, exec, s[6:7]
	v_and_b32_e32 v29, 0xffff0000, v22
	v_and_b32_e32 v22, 0xffff0000, v23
	v_fmac_f32_e32 v29, v22, v37
	s_mov_b32 s3, 0x7f800000
	v_and_b32_e32 v22, 0x7f800000, v29
	v_cmp_ne_u32_e64 s[4:5], s3, v22
                                        ; implicit-def: $vgpr22
	s_and_saveexec_b64 s[6:7], s[4:5]
	s_xor_b64 s[4:5], exec, s[6:7]
; %bb.79:
	v_bfe_u32 v22, v29, 16, 1
	s_movk_i32 s3, 0x7fff
	v_add3_u32 v22, v29, v22, s3
                                        ; implicit-def: $vgpr29
; %bb.80:
	s_andn2_saveexec_b64 s[6:7], s[4:5]
; %bb.81:
	v_mov_b32_e32 v22, 0
	v_or_b32_e32 v23, 0x10000, v29
	v_cmp_eq_u32_sdwa s[4:5], v29, v22 src0_sel:WORD_0 src1_sel:DWORD
	s_nop 1
	v_cndmask_b32_e64 v22, v23, v29, s[4:5]
; %bb.82:
	s_or_b64 exec, exec, s[6:7]
	v_and_b32_e32 v28, 0xffff0000, v28
	v_lshlrev_b32_e32 v23, 16, v24
	v_fmac_f32_e32 v28, v23, v36
	s_mov_b32 s3, 0x7f800000
	v_and_b32_e32 v23, 0x7f800000, v28
	v_cmp_ne_u32_e64 s[4:5], s3, v23
                                        ; implicit-def: $vgpr23
	s_and_saveexec_b64 s[6:7], s[4:5]
	s_xor_b64 s[4:5], exec, s[6:7]
; %bb.83:
	v_bfe_u32 v23, v28, 16, 1
	s_movk_i32 s3, 0x7fff
	v_add3_u32 v23, v28, v23, s3
                                        ; implicit-def: $vgpr28
; %bb.84:
	s_andn2_saveexec_b64 s[6:7], s[4:5]
; %bb.85:
	v_mov_b32_e32 v23, 0
	v_or_b32_e32 v29, 0x10000, v28
	v_cmp_eq_u32_sdwa s[4:5], v28, v23 src0_sel:WORD_0 src1_sel:DWORD
	s_nop 1
	v_cndmask_b32_e64 v23, v29, v28, s[4:5]
; %bb.86:
	s_or_b64 exec, exec, s[6:7]
	v_and_b32_e32 v22, 0xffff0000, v22
	v_and_b32_e32 v24, 0xffff0000, v24
	v_fmac_f32_e32 v22, v24, v35
	s_mov_b32 s3, 0x7f800000
	v_and_b32_e32 v24, 0x7f800000, v22
	v_cmp_ne_u32_e64 s[4:5], s3, v24
                                        ; implicit-def: $vgpr24
	s_and_saveexec_b64 s[6:7], s[4:5]
	s_xor_b64 s[4:5], exec, s[6:7]
; %bb.87:
	v_bfe_u32 v24, v22, 16, 1
	s_movk_i32 s3, 0x7fff
	v_add3_u32 v24, v22, v24, s3
                                        ; implicit-def: $vgpr22
; %bb.88:
	s_andn2_saveexec_b64 s[6:7], s[4:5]
; %bb.89:
	v_mov_b32_e32 v24, 0
	v_or_b32_e32 v28, 0x10000, v22
	v_cmp_eq_u32_sdwa s[4:5], v22, v24 src0_sel:WORD_0 src1_sel:DWORD
	s_nop 1
	v_cndmask_b32_e64 v24, v28, v22, s[4:5]
; %bb.90:
	s_or_b64 exec, exec, s[6:7]
	v_and_b32_e32 v23, 0xffff0000, v23
	v_lshlrev_b32_e32 v22, 16, v25
	v_fmac_f32_e32 v23, v22, v34
	s_mov_b32 s3, 0x7f800000
	v_and_b32_e32 v22, 0x7f800000, v23
	v_cmp_ne_u32_e64 s[4:5], s3, v22
                                        ; implicit-def: $vgpr22
	s_and_saveexec_b64 s[6:7], s[4:5]
	s_xor_b64 s[4:5], exec, s[6:7]
; %bb.91:
	v_bfe_u32 v22, v23, 16, 1
	s_movk_i32 s3, 0x7fff
	v_add3_u32 v22, v23, v22, s3
                                        ; implicit-def: $vgpr23
; %bb.92:
	s_andn2_saveexec_b64 s[6:7], s[4:5]
; %bb.93:
	v_mov_b32_e32 v22, 0
	v_or_b32_e32 v28, 0x10000, v23
	v_cmp_eq_u32_sdwa s[4:5], v23, v22 src0_sel:WORD_0 src1_sel:DWORD
	s_nop 1
	v_cndmask_b32_e64 v22, v28, v23, s[4:5]
; %bb.94:
	s_or_b64 exec, exec, s[6:7]
	v_and_b32_e32 v24, 0xffff0000, v24
	v_and_b32_e32 v23, 0xffff0000, v25
	v_fmac_f32_e32 v24, v23, v1
	s_mov_b32 s3, 0x7f800000
	v_and_b32_e32 v23, 0x7f800000, v24
	v_cmp_ne_u32_e64 s[4:5], s3, v23
                                        ; implicit-def: $vgpr23
	s_and_saveexec_b64 s[6:7], s[4:5]
	s_xor_b64 s[4:5], exec, s[6:7]
; %bb.95:
	v_bfe_u32 v23, v24, 16, 1
	s_movk_i32 s3, 0x7fff
	v_add3_u32 v23, v24, v23, s3
                                        ; implicit-def: $vgpr24
; %bb.96:
	s_andn2_saveexec_b64 s[6:7], s[4:5]
; %bb.97:
	v_mov_b32_e32 v23, 0
	v_or_b32_e32 v25, 0x10000, v24
	v_cmp_eq_u32_sdwa s[4:5], v24, v23 src0_sel:WORD_0 src1_sel:DWORD
	s_nop 1
	v_cndmask_b32_e64 v23, v25, v24, s[4:5]
; %bb.98:
	s_or_b64 exec, exec, s[6:7]
	v_lshlrev_b32_e32 v24, 16, v18
	v_mul_f32_e32 v25, v40, v24
	s_mov_b32 s3, 0x7f800000
	v_and_b32_e32 v24, 0x7f800000, v25
	v_cmp_ne_u32_e64 s[4:5], s3, v24
                                        ; implicit-def: $vgpr24
	s_and_saveexec_b64 s[6:7], s[4:5]
	s_xor_b64 s[4:5], exec, s[6:7]
; %bb.99:
	v_bfe_u32 v24, v25, 16, 1
	s_movk_i32 s3, 0x7fff
	v_add3_u32 v24, v25, v24, s3
                                        ; implicit-def: $vgpr25
; %bb.100:
	s_andn2_saveexec_b64 s[6:7], s[4:5]
; %bb.101:
	v_mov_b32_e32 v24, 0
	v_or_b32_e32 v28, 0x10000, v25
	v_cmp_eq_u32_sdwa s[4:5], v25, v24 src0_sel:WORD_0 src1_sel:DWORD
	s_nop 1
	v_cndmask_b32_e64 v24, v28, v25, s[4:5]
; %bb.102:
	s_or_b64 exec, exec, s[6:7]
	v_and_b32_e32 v18, 0xffff0000, v18
	v_mul_f32_e32 v25, v39, v18
	s_mov_b32 s3, 0x7f800000
	v_and_b32_e32 v18, 0x7f800000, v25
	v_cmp_ne_u32_e64 s[4:5], s3, v18
                                        ; implicit-def: $vgpr18
	s_and_saveexec_b64 s[6:7], s[4:5]
	s_xor_b64 s[4:5], exec, s[6:7]
; %bb.103:
	v_bfe_u32 v18, v25, 16, 1
	s_movk_i32 s3, 0x7fff
	v_add3_u32 v18, v25, v18, s3
                                        ; implicit-def: $vgpr25
; %bb.104:
	s_andn2_saveexec_b64 s[6:7], s[4:5]
; %bb.105:
	v_mov_b32_e32 v18, 0
	v_or_b32_e32 v28, 0x10000, v25
	v_cmp_eq_u32_sdwa s[4:5], v25, v18 src0_sel:WORD_0 src1_sel:DWORD
	s_nop 1
	v_cndmask_b32_e64 v18, v28, v25, s[4:5]
; %bb.106:
	s_or_b64 exec, exec, s[6:7]
	v_and_b32_e32 v25, 0xffff0000, v24
	v_lshlrev_b32_e32 v24, 16, v19
	v_fmac_f32_e32 v25, v24, v38
	s_mov_b32 s3, 0x7f800000
	v_and_b32_e32 v24, 0x7f800000, v25
	v_cmp_ne_u32_e64 s[4:5], s3, v24
                                        ; implicit-def: $vgpr24
	s_and_saveexec_b64 s[6:7], s[4:5]
	s_xor_b64 s[4:5], exec, s[6:7]
; %bb.107:
	v_bfe_u32 v24, v25, 16, 1
	s_movk_i32 s3, 0x7fff
	v_add3_u32 v24, v25, v24, s3
                                        ; implicit-def: $vgpr25
; %bb.108:
	s_andn2_saveexec_b64 s[6:7], s[4:5]
; %bb.109:
	v_mov_b32_e32 v24, 0
	v_or_b32_e32 v28, 0x10000, v25
	v_cmp_eq_u32_sdwa s[4:5], v25, v24 src0_sel:WORD_0 src1_sel:DWORD
	s_nop 1
	v_cndmask_b32_e64 v24, v28, v25, s[4:5]
; %bb.110:
	s_or_b64 exec, exec, s[6:7]
	v_and_b32_e32 v25, 0xffff0000, v18
	v_and_b32_e32 v18, 0xffff0000, v19
	v_fmac_f32_e32 v25, v18, v37
	s_mov_b32 s3, 0x7f800000
	v_and_b32_e32 v18, 0x7f800000, v25
	v_cmp_ne_u32_e64 s[4:5], s3, v18
                                        ; implicit-def: $vgpr18
	s_and_saveexec_b64 s[6:7], s[4:5]
	s_xor_b64 s[4:5], exec, s[6:7]
; %bb.111:
	v_bfe_u32 v18, v25, 16, 1
	s_movk_i32 s3, 0x7fff
	v_add3_u32 v18, v25, v18, s3
                                        ; implicit-def: $vgpr25
; %bb.112:
	s_andn2_saveexec_b64 s[6:7], s[4:5]
; %bb.113:
	v_mov_b32_e32 v18, 0
	v_or_b32_e32 v19, 0x10000, v25
	v_cmp_eq_u32_sdwa s[4:5], v25, v18 src0_sel:WORD_0 src1_sel:DWORD
	s_nop 1
	v_cndmask_b32_e64 v18, v19, v25, s[4:5]
; %bb.114:
	s_or_b64 exec, exec, s[6:7]
	v_and_b32_e32 v24, 0xffff0000, v24
	v_lshlrev_b32_e32 v19, 16, v20
	v_fmac_f32_e32 v24, v19, v36
	s_mov_b32 s3, 0x7f800000
	v_and_b32_e32 v19, 0x7f800000, v24
	v_cmp_ne_u32_e64 s[4:5], s3, v19
                                        ; implicit-def: $vgpr19
	s_and_saveexec_b64 s[6:7], s[4:5]
	s_xor_b64 s[4:5], exec, s[6:7]
; %bb.115:
	v_bfe_u32 v19, v24, 16, 1
	s_movk_i32 s3, 0x7fff
	v_add3_u32 v19, v24, v19, s3
                                        ; implicit-def: $vgpr24
; %bb.116:
	s_andn2_saveexec_b64 s[6:7], s[4:5]
; %bb.117:
	v_mov_b32_e32 v19, 0
	v_or_b32_e32 v25, 0x10000, v24
	v_cmp_eq_u32_sdwa s[4:5], v24, v19 src0_sel:WORD_0 src1_sel:DWORD
	s_nop 1
	v_cndmask_b32_e64 v19, v25, v24, s[4:5]
; %bb.118:
	s_or_b64 exec, exec, s[6:7]
	v_and_b32_e32 v18, 0xffff0000, v18
	v_and_b32_e32 v20, 0xffff0000, v20
	v_fmac_f32_e32 v18, v20, v35
	s_mov_b32 s3, 0x7f800000
	v_and_b32_e32 v20, 0x7f800000, v18
	v_cmp_ne_u32_e64 s[4:5], s3, v20
                                        ; implicit-def: $vgpr20
	s_and_saveexec_b64 s[6:7], s[4:5]
	s_xor_b64 s[4:5], exec, s[6:7]
; %bb.119:
	v_bfe_u32 v20, v18, 16, 1
	s_movk_i32 s3, 0x7fff
	v_add3_u32 v20, v18, v20, s3
                                        ; implicit-def: $vgpr18
; %bb.120:
	s_andn2_saveexec_b64 s[6:7], s[4:5]
; %bb.121:
	v_mov_b32_e32 v20, 0
	v_or_b32_e32 v24, 0x10000, v18
	v_cmp_eq_u32_sdwa s[4:5], v18, v20 src0_sel:WORD_0 src1_sel:DWORD
	s_nop 1
	v_cndmask_b32_e64 v20, v24, v18, s[4:5]
; %bb.122:
	s_or_b64 exec, exec, s[6:7]
	v_and_b32_e32 v19, 0xffff0000, v19
	v_lshlrev_b32_e32 v18, 16, v21
	v_fmac_f32_e32 v19, v18, v34
	s_mov_b32 s3, 0x7f800000
	v_and_b32_e32 v18, 0x7f800000, v19
	v_cmp_ne_u32_e64 s[4:5], s3, v18
                                        ; implicit-def: $vgpr18
	s_and_saveexec_b64 s[6:7], s[4:5]
	s_xor_b64 s[4:5], exec, s[6:7]
; %bb.123:
	v_bfe_u32 v18, v19, 16, 1
	s_movk_i32 s3, 0x7fff
	v_add3_u32 v18, v19, v18, s3
                                        ; implicit-def: $vgpr19
; %bb.124:
	s_andn2_saveexec_b64 s[6:7], s[4:5]
; %bb.125:
	v_mov_b32_e32 v18, 0
	v_or_b32_e32 v24, 0x10000, v19
	v_cmp_eq_u32_sdwa s[4:5], v19, v18 src0_sel:WORD_0 src1_sel:DWORD
	s_nop 1
	v_cndmask_b32_e64 v18, v24, v19, s[4:5]
; %bb.126:
	s_or_b64 exec, exec, s[6:7]
	v_and_b32_e32 v20, 0xffff0000, v20
	v_and_b32_e32 v19, 0xffff0000, v21
	v_fmac_f32_e32 v20, v19, v1
	s_mov_b32 s3, 0x7f800000
	v_and_b32_e32 v19, 0x7f800000, v20
	v_cmp_ne_u32_e64 s[4:5], s3, v19
                                        ; implicit-def: $vgpr19
	s_and_saveexec_b64 s[6:7], s[4:5]
	s_xor_b64 s[4:5], exec, s[6:7]
; %bb.127:
	v_bfe_u32 v19, v20, 16, 1
	s_movk_i32 s3, 0x7fff
	v_add3_u32 v19, v20, v19, s3
                                        ; implicit-def: $vgpr20
; %bb.128:
	s_andn2_saveexec_b64 s[6:7], s[4:5]
; %bb.129:
	v_mov_b32_e32 v19, 0
	v_or_b32_e32 v21, 0x10000, v20
	v_cmp_eq_u32_sdwa s[4:5], v20, v19 src0_sel:WORD_0 src1_sel:DWORD
	s_nop 1
	v_cndmask_b32_e64 v19, v21, v20, s[4:5]
; %bb.130:
	s_or_b64 exec, exec, s[6:7]
	s_waitcnt vmcnt(3)
	v_lshlrev_b32_e32 v20, 16, v14
	v_mul_f32_e32 v21, v40, v20
	s_mov_b32 s3, 0x7f800000
	v_and_b32_e32 v20, 0x7f800000, v21
	v_cmp_ne_u32_e64 s[4:5], s3, v20
                                        ; implicit-def: $vgpr20
	s_and_saveexec_b64 s[6:7], s[4:5]
	s_xor_b64 s[4:5], exec, s[6:7]
; %bb.131:
	v_bfe_u32 v20, v21, 16, 1
	s_movk_i32 s3, 0x7fff
	v_add3_u32 v20, v21, v20, s3
                                        ; implicit-def: $vgpr21
; %bb.132:
	s_andn2_saveexec_b64 s[6:7], s[4:5]
; %bb.133:
	v_mov_b32_e32 v20, 0
	v_or_b32_e32 v24, 0x10000, v21
	v_cmp_eq_u32_sdwa s[4:5], v21, v20 src0_sel:WORD_0 src1_sel:DWORD
	s_nop 1
	v_cndmask_b32_e64 v20, v24, v21, s[4:5]
; %bb.134:
	s_or_b64 exec, exec, s[6:7]
	v_and_b32_e32 v14, 0xffff0000, v14
	v_mul_f32_e32 v21, v39, v14
	s_mov_b32 s3, 0x7f800000
	v_and_b32_e32 v14, 0x7f800000, v21
	v_cmp_ne_u32_e64 s[4:5], s3, v14
                                        ; implicit-def: $vgpr14
	s_and_saveexec_b64 s[6:7], s[4:5]
	s_xor_b64 s[4:5], exec, s[6:7]
; %bb.135:
	v_bfe_u32 v14, v21, 16, 1
	s_movk_i32 s3, 0x7fff
	v_add3_u32 v14, v21, v14, s3
                                        ; implicit-def: $vgpr21
; %bb.136:
	s_andn2_saveexec_b64 s[6:7], s[4:5]
; %bb.137:
	v_mov_b32_e32 v14, 0
	v_or_b32_e32 v24, 0x10000, v21
	v_cmp_eq_u32_sdwa s[4:5], v21, v14 src0_sel:WORD_0 src1_sel:DWORD
	s_nop 1
	v_cndmask_b32_e64 v14, v24, v21, s[4:5]
; %bb.138:
	s_or_b64 exec, exec, s[6:7]
	v_and_b32_e32 v21, 0xffff0000, v20
	v_lshlrev_b32_e32 v20, 16, v15
	v_fmac_f32_e32 v21, v20, v38
	s_mov_b32 s3, 0x7f800000
	v_and_b32_e32 v20, 0x7f800000, v21
	v_cmp_ne_u32_e64 s[4:5], s3, v20
                                        ; implicit-def: $vgpr20
	s_and_saveexec_b64 s[6:7], s[4:5]
	s_xor_b64 s[4:5], exec, s[6:7]
; %bb.139:
	v_bfe_u32 v20, v21, 16, 1
	s_movk_i32 s3, 0x7fff
	v_add3_u32 v20, v21, v20, s3
                                        ; implicit-def: $vgpr21
; %bb.140:
	s_andn2_saveexec_b64 s[6:7], s[4:5]
; %bb.141:
	v_mov_b32_e32 v20, 0
	v_or_b32_e32 v24, 0x10000, v21
	v_cmp_eq_u32_sdwa s[4:5], v21, v20 src0_sel:WORD_0 src1_sel:DWORD
	s_nop 1
	v_cndmask_b32_e64 v20, v24, v21, s[4:5]
; %bb.142:
	s_or_b64 exec, exec, s[6:7]
	v_and_b32_e32 v21, 0xffff0000, v14
	v_and_b32_e32 v14, 0xffff0000, v15
	v_fmac_f32_e32 v21, v14, v37
	s_mov_b32 s3, 0x7f800000
	v_and_b32_e32 v14, 0x7f800000, v21
	v_cmp_ne_u32_e64 s[4:5], s3, v14
                                        ; implicit-def: $vgpr14
	s_and_saveexec_b64 s[6:7], s[4:5]
	s_xor_b64 s[4:5], exec, s[6:7]
; %bb.143:
	v_bfe_u32 v14, v21, 16, 1
	s_movk_i32 s3, 0x7fff
	v_add3_u32 v14, v21, v14, s3
                                        ; implicit-def: $vgpr21
; %bb.144:
	s_andn2_saveexec_b64 s[6:7], s[4:5]
; %bb.145:
	v_mov_b32_e32 v14, 0
	v_or_b32_e32 v15, 0x10000, v21
	v_cmp_eq_u32_sdwa s[4:5], v21, v14 src0_sel:WORD_0 src1_sel:DWORD
	s_nop 1
	v_cndmask_b32_e64 v14, v15, v21, s[4:5]
; %bb.146:
	s_or_b64 exec, exec, s[6:7]
	v_and_b32_e32 v20, 0xffff0000, v20
	v_lshlrev_b32_e32 v15, 16, v16
	v_fmac_f32_e32 v20, v15, v36
	s_mov_b32 s3, 0x7f800000
	v_and_b32_e32 v15, 0x7f800000, v20
	v_cmp_ne_u32_e64 s[4:5], s3, v15
                                        ; implicit-def: $vgpr15
	s_and_saveexec_b64 s[6:7], s[4:5]
	s_xor_b64 s[4:5], exec, s[6:7]
; %bb.147:
	v_bfe_u32 v15, v20, 16, 1
	s_movk_i32 s3, 0x7fff
	v_add3_u32 v15, v20, v15, s3
                                        ; implicit-def: $vgpr20
; %bb.148:
	s_andn2_saveexec_b64 s[6:7], s[4:5]
; %bb.149:
	v_mov_b32_e32 v15, 0
	v_or_b32_e32 v21, 0x10000, v20
	v_cmp_eq_u32_sdwa s[4:5], v20, v15 src0_sel:WORD_0 src1_sel:DWORD
	s_nop 1
	v_cndmask_b32_e64 v15, v21, v20, s[4:5]
; %bb.150:
	s_or_b64 exec, exec, s[6:7]
	v_and_b32_e32 v14, 0xffff0000, v14
	v_and_b32_e32 v16, 0xffff0000, v16
	v_fmac_f32_e32 v14, v16, v35
	s_mov_b32 s3, 0x7f800000
	v_and_b32_e32 v16, 0x7f800000, v14
	v_cmp_ne_u32_e64 s[4:5], s3, v16
                                        ; implicit-def: $vgpr16
	s_and_saveexec_b64 s[6:7], s[4:5]
	s_xor_b64 s[4:5], exec, s[6:7]
; %bb.151:
	v_bfe_u32 v16, v14, 16, 1
	s_movk_i32 s3, 0x7fff
	v_add3_u32 v16, v14, v16, s3
                                        ; implicit-def: $vgpr14
; %bb.152:
	s_andn2_saveexec_b64 s[6:7], s[4:5]
; %bb.153:
	v_mov_b32_e32 v16, 0
	v_or_b32_e32 v20, 0x10000, v14
	v_cmp_eq_u32_sdwa s[4:5], v14, v16 src0_sel:WORD_0 src1_sel:DWORD
	s_nop 1
	v_cndmask_b32_e64 v16, v20, v14, s[4:5]
; %bb.154:
	s_or_b64 exec, exec, s[6:7]
	v_and_b32_e32 v15, 0xffff0000, v15
	v_lshlrev_b32_e32 v14, 16, v17
	v_fmac_f32_e32 v15, v14, v34
	s_mov_b32 s3, 0x7f800000
	v_and_b32_e32 v14, 0x7f800000, v15
	v_cmp_ne_u32_e64 s[4:5], s3, v14
                                        ; implicit-def: $vgpr14
	s_and_saveexec_b64 s[6:7], s[4:5]
	s_xor_b64 s[4:5], exec, s[6:7]
; %bb.155:
	v_bfe_u32 v14, v15, 16, 1
	s_movk_i32 s3, 0x7fff
	v_add3_u32 v14, v15, v14, s3
                                        ; implicit-def: $vgpr15
; %bb.156:
	s_andn2_saveexec_b64 s[6:7], s[4:5]
; %bb.157:
	v_mov_b32_e32 v14, 0
	v_or_b32_e32 v20, 0x10000, v15
	v_cmp_eq_u32_sdwa s[4:5], v15, v14 src0_sel:WORD_0 src1_sel:DWORD
	s_nop 1
	v_cndmask_b32_e64 v14, v20, v15, s[4:5]
; %bb.158:
	s_or_b64 exec, exec, s[6:7]
	v_and_b32_e32 v16, 0xffff0000, v16
	v_and_b32_e32 v15, 0xffff0000, v17
	v_fmac_f32_e32 v16, v15, v1
	s_mov_b32 s3, 0x7f800000
	v_and_b32_e32 v15, 0x7f800000, v16
	v_cmp_ne_u32_e64 s[4:5], s3, v15
                                        ; implicit-def: $vgpr15
	s_and_saveexec_b64 s[6:7], s[4:5]
	s_xor_b64 s[4:5], exec, s[6:7]
; %bb.159:
	v_bfe_u32 v15, v16, 16, 1
	s_movk_i32 s3, 0x7fff
	v_add3_u32 v15, v16, v15, s3
                                        ; implicit-def: $vgpr16
; %bb.160:
	s_andn2_saveexec_b64 s[6:7], s[4:5]
; %bb.161:
	v_mov_b32_e32 v15, 0
	v_or_b32_e32 v17, 0x10000, v16
	v_cmp_eq_u32_sdwa s[4:5], v16, v15 src0_sel:WORD_0 src1_sel:DWORD
	s_nop 1
	v_cndmask_b32_e64 v15, v17, v16, s[4:5]
; %bb.162:
	s_or_b64 exec, exec, s[6:7]
	s_waitcnt vmcnt(2)
	v_lshlrev_b32_e32 v16, 16, v10
	v_mul_f32_e32 v17, v40, v16
	s_mov_b32 s3, 0x7f800000
	v_and_b32_e32 v16, 0x7f800000, v17
	v_cmp_ne_u32_e64 s[4:5], s3, v16
                                        ; implicit-def: $vgpr16
	s_and_saveexec_b64 s[6:7], s[4:5]
	s_xor_b64 s[4:5], exec, s[6:7]
; %bb.163:
	v_bfe_u32 v16, v17, 16, 1
	s_movk_i32 s3, 0x7fff
	v_add3_u32 v16, v17, v16, s3
                                        ; implicit-def: $vgpr17
; %bb.164:
	s_andn2_saveexec_b64 s[6:7], s[4:5]
; %bb.165:
	v_mov_b32_e32 v16, 0
	v_or_b32_e32 v20, 0x10000, v17
	v_cmp_eq_u32_sdwa s[4:5], v17, v16 src0_sel:WORD_0 src1_sel:DWORD
	s_nop 1
	v_cndmask_b32_e64 v16, v20, v17, s[4:5]
; %bb.166:
	s_or_b64 exec, exec, s[6:7]
	v_and_b32_e32 v10, 0xffff0000, v10
	v_mul_f32_e32 v17, v39, v10
	s_mov_b32 s3, 0x7f800000
	v_and_b32_e32 v10, 0x7f800000, v17
	v_cmp_ne_u32_e64 s[4:5], s3, v10
                                        ; implicit-def: $vgpr10
	s_and_saveexec_b64 s[6:7], s[4:5]
	s_xor_b64 s[4:5], exec, s[6:7]
; %bb.167:
	v_bfe_u32 v10, v17, 16, 1
	s_movk_i32 s3, 0x7fff
	v_add3_u32 v10, v17, v10, s3
                                        ; implicit-def: $vgpr17
; %bb.168:
	s_andn2_saveexec_b64 s[6:7], s[4:5]
; %bb.169:
	v_mov_b32_e32 v10, 0
	v_or_b32_e32 v20, 0x10000, v17
	v_cmp_eq_u32_sdwa s[4:5], v17, v10 src0_sel:WORD_0 src1_sel:DWORD
	s_nop 1
	v_cndmask_b32_e64 v10, v20, v17, s[4:5]
; %bb.170:
	s_or_b64 exec, exec, s[6:7]
	v_and_b32_e32 v17, 0xffff0000, v16
	v_lshlrev_b32_e32 v16, 16, v11
	v_fmac_f32_e32 v17, v16, v38
	s_mov_b32 s3, 0x7f800000
	v_and_b32_e32 v16, 0x7f800000, v17
	v_cmp_ne_u32_e64 s[4:5], s3, v16
                                        ; implicit-def: $vgpr16
	s_and_saveexec_b64 s[6:7], s[4:5]
	s_xor_b64 s[4:5], exec, s[6:7]
; %bb.171:
	v_bfe_u32 v16, v17, 16, 1
	s_movk_i32 s3, 0x7fff
	v_add3_u32 v16, v17, v16, s3
                                        ; implicit-def: $vgpr17
; %bb.172:
	s_andn2_saveexec_b64 s[6:7], s[4:5]
; %bb.173:
	v_mov_b32_e32 v16, 0
	v_or_b32_e32 v20, 0x10000, v17
	v_cmp_eq_u32_sdwa s[4:5], v17, v16 src0_sel:WORD_0 src1_sel:DWORD
	s_nop 1
	v_cndmask_b32_e64 v16, v20, v17, s[4:5]
; %bb.174:
	s_or_b64 exec, exec, s[6:7]
	v_and_b32_e32 v17, 0xffff0000, v10
	v_and_b32_e32 v10, 0xffff0000, v11
	v_fmac_f32_e32 v17, v10, v37
	s_mov_b32 s3, 0x7f800000
	v_and_b32_e32 v10, 0x7f800000, v17
	v_cmp_ne_u32_e64 s[4:5], s3, v10
                                        ; implicit-def: $vgpr10
	s_and_saveexec_b64 s[6:7], s[4:5]
	s_xor_b64 s[4:5], exec, s[6:7]
; %bb.175:
	v_bfe_u32 v10, v17, 16, 1
	s_movk_i32 s3, 0x7fff
	v_add3_u32 v10, v17, v10, s3
                                        ; implicit-def: $vgpr17
; %bb.176:
	s_andn2_saveexec_b64 s[6:7], s[4:5]
; %bb.177:
	v_mov_b32_e32 v10, 0
	v_or_b32_e32 v11, 0x10000, v17
	v_cmp_eq_u32_sdwa s[4:5], v17, v10 src0_sel:WORD_0 src1_sel:DWORD
	s_nop 1
	v_cndmask_b32_e64 v10, v11, v17, s[4:5]
; %bb.178:
	s_or_b64 exec, exec, s[6:7]
	v_and_b32_e32 v16, 0xffff0000, v16
	v_lshlrev_b32_e32 v11, 16, v12
	v_fmac_f32_e32 v16, v11, v36
	s_mov_b32 s3, 0x7f800000
	v_and_b32_e32 v11, 0x7f800000, v16
	v_cmp_ne_u32_e64 s[4:5], s3, v11
                                        ; implicit-def: $vgpr11
	s_and_saveexec_b64 s[6:7], s[4:5]
	s_xor_b64 s[4:5], exec, s[6:7]
; %bb.179:
	v_bfe_u32 v11, v16, 16, 1
	s_movk_i32 s3, 0x7fff
	v_add3_u32 v11, v16, v11, s3
                                        ; implicit-def: $vgpr16
; %bb.180:
	s_andn2_saveexec_b64 s[6:7], s[4:5]
; %bb.181:
	v_mov_b32_e32 v11, 0
	v_or_b32_e32 v17, 0x10000, v16
	v_cmp_eq_u32_sdwa s[4:5], v16, v11 src0_sel:WORD_0 src1_sel:DWORD
	s_nop 1
	v_cndmask_b32_e64 v11, v17, v16, s[4:5]
; %bb.182:
	s_or_b64 exec, exec, s[6:7]
	v_and_b32_e32 v10, 0xffff0000, v10
	v_and_b32_e32 v12, 0xffff0000, v12
	v_fmac_f32_e32 v10, v12, v35
	s_mov_b32 s3, 0x7f800000
	v_and_b32_e32 v12, 0x7f800000, v10
	v_cmp_ne_u32_e64 s[4:5], s3, v12
                                        ; implicit-def: $vgpr12
	s_and_saveexec_b64 s[6:7], s[4:5]
	s_xor_b64 s[4:5], exec, s[6:7]
; %bb.183:
	v_bfe_u32 v12, v10, 16, 1
	s_movk_i32 s3, 0x7fff
	v_add3_u32 v12, v10, v12, s3
                                        ; implicit-def: $vgpr10
; %bb.184:
	s_andn2_saveexec_b64 s[6:7], s[4:5]
; %bb.185:
	v_mov_b32_e32 v12, 0
	v_or_b32_e32 v16, 0x10000, v10
	v_cmp_eq_u32_sdwa s[4:5], v10, v12 src0_sel:WORD_0 src1_sel:DWORD
	s_nop 1
	v_cndmask_b32_e64 v12, v16, v10, s[4:5]
; %bb.186:
	s_or_b64 exec, exec, s[6:7]
	v_and_b32_e32 v11, 0xffff0000, v11
	v_lshlrev_b32_e32 v10, 16, v13
	v_fmac_f32_e32 v11, v10, v34
	s_mov_b32 s3, 0x7f800000
	v_and_b32_e32 v10, 0x7f800000, v11
	v_cmp_ne_u32_e64 s[4:5], s3, v10
                                        ; implicit-def: $vgpr10
	s_and_saveexec_b64 s[6:7], s[4:5]
	s_xor_b64 s[4:5], exec, s[6:7]
; %bb.187:
	v_bfe_u32 v10, v11, 16, 1
	s_movk_i32 s3, 0x7fff
	v_add3_u32 v10, v11, v10, s3
                                        ; implicit-def: $vgpr11
; %bb.188:
	s_andn2_saveexec_b64 s[6:7], s[4:5]
; %bb.189:
	v_mov_b32_e32 v10, 0
	v_or_b32_e32 v16, 0x10000, v11
	v_cmp_eq_u32_sdwa s[4:5], v11, v10 src0_sel:WORD_0 src1_sel:DWORD
	s_nop 1
	v_cndmask_b32_e64 v10, v16, v11, s[4:5]
; %bb.190:
	s_or_b64 exec, exec, s[6:7]
	v_and_b32_e32 v12, 0xffff0000, v12
	v_and_b32_e32 v11, 0xffff0000, v13
	v_fmac_f32_e32 v12, v11, v1
	s_mov_b32 s3, 0x7f800000
	v_and_b32_e32 v11, 0x7f800000, v12
	v_cmp_ne_u32_e64 s[4:5], s3, v11
                                        ; implicit-def: $vgpr11
	s_and_saveexec_b64 s[6:7], s[4:5]
	s_xor_b64 s[4:5], exec, s[6:7]
; %bb.191:
	v_bfe_u32 v11, v12, 16, 1
	s_movk_i32 s3, 0x7fff
	v_add3_u32 v11, v12, v11, s3
                                        ; implicit-def: $vgpr12
; %bb.192:
	s_andn2_saveexec_b64 s[6:7], s[4:5]
; %bb.193:
	v_mov_b32_e32 v11, 0
	v_or_b32_e32 v13, 0x10000, v12
	v_cmp_eq_u32_sdwa s[4:5], v12, v11 src0_sel:WORD_0 src1_sel:DWORD
	s_nop 1
	v_cndmask_b32_e64 v11, v13, v12, s[4:5]
; %bb.194:
	s_or_b64 exec, exec, s[6:7]
	s_waitcnt vmcnt(1)
	v_lshlrev_b32_e32 v12, 16, v6
	v_mul_f32_e32 v13, v40, v12
	s_mov_b32 s3, 0x7f800000
	v_and_b32_e32 v12, 0x7f800000, v13
	v_cmp_ne_u32_e64 s[4:5], s3, v12
                                        ; implicit-def: $vgpr12
	s_and_saveexec_b64 s[6:7], s[4:5]
	s_xor_b64 s[4:5], exec, s[6:7]
; %bb.195:
	v_bfe_u32 v12, v13, 16, 1
	s_movk_i32 s3, 0x7fff
	v_add3_u32 v12, v13, v12, s3
                                        ; implicit-def: $vgpr13
; %bb.196:
	s_andn2_saveexec_b64 s[6:7], s[4:5]
; %bb.197:
	v_mov_b32_e32 v12, 0
	v_or_b32_e32 v16, 0x10000, v13
	v_cmp_eq_u32_sdwa s[4:5], v13, v12 src0_sel:WORD_0 src1_sel:DWORD
	s_nop 1
	v_cndmask_b32_e64 v12, v16, v13, s[4:5]
; %bb.198:
	s_or_b64 exec, exec, s[6:7]
	v_and_b32_e32 v6, 0xffff0000, v6
	v_mul_f32_e32 v13, v39, v6
	s_mov_b32 s3, 0x7f800000
	v_and_b32_e32 v6, 0x7f800000, v13
	v_cmp_ne_u32_e64 s[4:5], s3, v6
                                        ; implicit-def: $vgpr6
	s_and_saveexec_b64 s[6:7], s[4:5]
	s_xor_b64 s[4:5], exec, s[6:7]
; %bb.199:
	v_bfe_u32 v6, v13, 16, 1
	s_movk_i32 s3, 0x7fff
	v_add3_u32 v6, v13, v6, s3
                                        ; implicit-def: $vgpr13
; %bb.200:
	s_andn2_saveexec_b64 s[6:7], s[4:5]
; %bb.201:
	v_mov_b32_e32 v6, 0
	v_or_b32_e32 v16, 0x10000, v13
	v_cmp_eq_u32_sdwa s[4:5], v13, v6 src0_sel:WORD_0 src1_sel:DWORD
	s_nop 1
	v_cndmask_b32_e64 v6, v16, v13, s[4:5]
; %bb.202:
	s_or_b64 exec, exec, s[6:7]
	v_and_b32_e32 v13, 0xffff0000, v12
	v_lshlrev_b32_e32 v12, 16, v7
	v_fmac_f32_e32 v13, v12, v38
	s_mov_b32 s3, 0x7f800000
	v_and_b32_e32 v12, 0x7f800000, v13
	v_cmp_ne_u32_e64 s[4:5], s3, v12
                                        ; implicit-def: $vgpr12
	s_and_saveexec_b64 s[6:7], s[4:5]
	s_xor_b64 s[4:5], exec, s[6:7]
; %bb.203:
	v_bfe_u32 v12, v13, 16, 1
	s_movk_i32 s3, 0x7fff
	v_add3_u32 v12, v13, v12, s3
                                        ; implicit-def: $vgpr13
; %bb.204:
	s_andn2_saveexec_b64 s[6:7], s[4:5]
; %bb.205:
	v_mov_b32_e32 v12, 0
	v_or_b32_e32 v16, 0x10000, v13
	v_cmp_eq_u32_sdwa s[4:5], v13, v12 src0_sel:WORD_0 src1_sel:DWORD
	s_nop 1
	v_cndmask_b32_e64 v12, v16, v13, s[4:5]
; %bb.206:
	s_or_b64 exec, exec, s[6:7]
	v_and_b32_e32 v13, 0xffff0000, v6
	v_and_b32_e32 v6, 0xffff0000, v7
	v_fmac_f32_e32 v13, v6, v37
	s_mov_b32 s3, 0x7f800000
	v_and_b32_e32 v6, 0x7f800000, v13
	v_cmp_ne_u32_e64 s[4:5], s3, v6
                                        ; implicit-def: $vgpr6
	s_and_saveexec_b64 s[6:7], s[4:5]
	s_xor_b64 s[4:5], exec, s[6:7]
; %bb.207:
	v_bfe_u32 v6, v13, 16, 1
	s_movk_i32 s3, 0x7fff
	v_add3_u32 v6, v13, v6, s3
                                        ; implicit-def: $vgpr13
; %bb.208:
	s_andn2_saveexec_b64 s[6:7], s[4:5]
; %bb.209:
	v_mov_b32_e32 v6, 0
	v_or_b32_e32 v7, 0x10000, v13
	v_cmp_eq_u32_sdwa s[4:5], v13, v6 src0_sel:WORD_0 src1_sel:DWORD
	s_nop 1
	v_cndmask_b32_e64 v6, v7, v13, s[4:5]
; %bb.210:
	s_or_b64 exec, exec, s[6:7]
	v_and_b32_e32 v12, 0xffff0000, v12
	v_lshlrev_b32_e32 v7, 16, v8
	v_fmac_f32_e32 v12, v7, v36
	s_mov_b32 s3, 0x7f800000
	v_and_b32_e32 v7, 0x7f800000, v12
	v_cmp_ne_u32_e64 s[4:5], s3, v7
                                        ; implicit-def: $vgpr7
	s_and_saveexec_b64 s[6:7], s[4:5]
	s_xor_b64 s[4:5], exec, s[6:7]
; %bb.211:
	v_bfe_u32 v7, v12, 16, 1
	s_movk_i32 s3, 0x7fff
	v_add3_u32 v7, v12, v7, s3
                                        ; implicit-def: $vgpr12
; %bb.212:
	s_andn2_saveexec_b64 s[6:7], s[4:5]
; %bb.213:
	v_mov_b32_e32 v7, 0
	v_or_b32_e32 v13, 0x10000, v12
	v_cmp_eq_u32_sdwa s[4:5], v12, v7 src0_sel:WORD_0 src1_sel:DWORD
	s_nop 1
	v_cndmask_b32_e64 v7, v13, v12, s[4:5]
; %bb.214:
	s_or_b64 exec, exec, s[6:7]
	v_and_b32_e32 v6, 0xffff0000, v6
	v_and_b32_e32 v8, 0xffff0000, v8
	v_fmac_f32_e32 v6, v8, v35
	s_mov_b32 s3, 0x7f800000
	v_and_b32_e32 v8, 0x7f800000, v6
	v_cmp_ne_u32_e64 s[4:5], s3, v8
                                        ; implicit-def: $vgpr8
	s_and_saveexec_b64 s[6:7], s[4:5]
	s_xor_b64 s[4:5], exec, s[6:7]
; %bb.215:
	v_bfe_u32 v8, v6, 16, 1
	s_movk_i32 s3, 0x7fff
	v_add3_u32 v8, v6, v8, s3
                                        ; implicit-def: $vgpr6
; %bb.216:
	s_andn2_saveexec_b64 s[6:7], s[4:5]
; %bb.217:
	v_mov_b32_e32 v8, 0
	v_or_b32_e32 v12, 0x10000, v6
	v_cmp_eq_u32_sdwa s[4:5], v6, v8 src0_sel:WORD_0 src1_sel:DWORD
	s_nop 1
	v_cndmask_b32_e64 v8, v12, v6, s[4:5]
; %bb.218:
	s_or_b64 exec, exec, s[6:7]
	v_and_b32_e32 v7, 0xffff0000, v7
	v_lshlrev_b32_e32 v6, 16, v9
	v_fmac_f32_e32 v7, v6, v34
	s_mov_b32 s3, 0x7f800000
	v_and_b32_e32 v6, 0x7f800000, v7
	v_cmp_ne_u32_e64 s[4:5], s3, v6
                                        ; implicit-def: $vgpr6
	s_and_saveexec_b64 s[6:7], s[4:5]
	s_xor_b64 s[4:5], exec, s[6:7]
; %bb.219:
	v_bfe_u32 v6, v7, 16, 1
	s_movk_i32 s3, 0x7fff
	v_add3_u32 v6, v7, v6, s3
                                        ; implicit-def: $vgpr7
; %bb.220:
	s_andn2_saveexec_b64 s[6:7], s[4:5]
; %bb.221:
	v_mov_b32_e32 v6, 0
	v_or_b32_e32 v12, 0x10000, v7
	v_cmp_eq_u32_sdwa s[4:5], v7, v6 src0_sel:WORD_0 src1_sel:DWORD
	s_nop 1
	v_cndmask_b32_e64 v6, v12, v7, s[4:5]
; %bb.222:
	s_or_b64 exec, exec, s[6:7]
	v_and_b32_e32 v8, 0xffff0000, v8
	v_and_b32_e32 v7, 0xffff0000, v9
	v_fmac_f32_e32 v8, v7, v1
	s_mov_b32 s3, 0x7f800000
	v_and_b32_e32 v7, 0x7f800000, v8
	v_cmp_ne_u32_e64 s[4:5], s3, v7
                                        ; implicit-def: $vgpr7
	s_and_saveexec_b64 s[6:7], s[4:5]
	s_xor_b64 s[4:5], exec, s[6:7]
; %bb.223:
	v_bfe_u32 v7, v8, 16, 1
	s_movk_i32 s3, 0x7fff
	v_add3_u32 v7, v8, v7, s3
                                        ; implicit-def: $vgpr8
; %bb.224:
	s_andn2_saveexec_b64 s[6:7], s[4:5]
; %bb.225:
	v_mov_b32_e32 v7, 0
	v_or_b32_e32 v9, 0x10000, v8
	v_cmp_eq_u32_sdwa s[4:5], v8, v7 src0_sel:WORD_0 src1_sel:DWORD
	s_nop 1
	v_cndmask_b32_e64 v7, v9, v8, s[4:5]
; %bb.226:
	s_or_b64 exec, exec, s[6:7]
	s_waitcnt vmcnt(0)
	v_lshlrev_b32_e32 v8, 16, v2
	v_mul_f32_e32 v9, v40, v8
	s_mov_b32 s3, 0x7f800000
	v_and_b32_e32 v8, 0x7f800000, v9
	v_cmp_ne_u32_e64 s[4:5], s3, v8
                                        ; implicit-def: $vgpr8
	s_and_saveexec_b64 s[6:7], s[4:5]
	s_xor_b64 s[4:5], exec, s[6:7]
; %bb.227:
	v_bfe_u32 v8, v9, 16, 1
	s_movk_i32 s3, 0x7fff
	v_add3_u32 v8, v9, v8, s3
                                        ; implicit-def: $vgpr9
; %bb.228:
	s_andn2_saveexec_b64 s[6:7], s[4:5]
; %bb.229:
	v_mov_b32_e32 v8, 0
	v_or_b32_e32 v12, 0x10000, v9
	v_cmp_eq_u32_sdwa s[4:5], v9, v8 src0_sel:WORD_0 src1_sel:DWORD
	s_nop 1
	v_cndmask_b32_e64 v8, v12, v9, s[4:5]
; %bb.230:
	s_or_b64 exec, exec, s[6:7]
	v_and_b32_e32 v2, 0xffff0000, v2
	v_mul_f32_e32 v9, v39, v2
	s_mov_b32 s3, 0x7f800000
	v_and_b32_e32 v2, 0x7f800000, v9
	v_cmp_ne_u32_e64 s[4:5], s3, v2
                                        ; implicit-def: $vgpr2
	s_and_saveexec_b64 s[6:7], s[4:5]
	s_xor_b64 s[4:5], exec, s[6:7]
; %bb.231:
	v_bfe_u32 v2, v9, 16, 1
	s_movk_i32 s3, 0x7fff
	v_add3_u32 v2, v9, v2, s3
                                        ; implicit-def: $vgpr9
; %bb.232:
	s_andn2_saveexec_b64 s[6:7], s[4:5]
; %bb.233:
	v_mov_b32_e32 v2, 0
	v_or_b32_e32 v12, 0x10000, v9
	v_cmp_eq_u32_sdwa s[4:5], v9, v2 src0_sel:WORD_0 src1_sel:DWORD
	s_nop 1
	v_cndmask_b32_e64 v2, v12, v9, s[4:5]
; %bb.234:
	s_or_b64 exec, exec, s[6:7]
	v_and_b32_e32 v9, 0xffff0000, v8
	v_lshlrev_b32_e32 v8, 16, v3
	v_fmac_f32_e32 v9, v8, v38
	s_mov_b32 s3, 0x7f800000
	v_and_b32_e32 v8, 0x7f800000, v9
	v_cmp_ne_u32_e64 s[4:5], s3, v8
                                        ; implicit-def: $vgpr8
	s_and_saveexec_b64 s[6:7], s[4:5]
	s_xor_b64 s[4:5], exec, s[6:7]
; %bb.235:
	v_bfe_u32 v8, v9, 16, 1
	s_movk_i32 s3, 0x7fff
	v_add3_u32 v8, v9, v8, s3
                                        ; implicit-def: $vgpr9
; %bb.236:
	s_andn2_saveexec_b64 s[6:7], s[4:5]
; %bb.237:
	v_mov_b32_e32 v8, 0
	v_or_b32_e32 v12, 0x10000, v9
	v_cmp_eq_u32_sdwa s[4:5], v9, v8 src0_sel:WORD_0 src1_sel:DWORD
	s_nop 1
	v_cndmask_b32_e64 v8, v12, v9, s[4:5]
; %bb.238:
	s_or_b64 exec, exec, s[6:7]
	v_and_b32_e32 v9, 0xffff0000, v2
	v_and_b32_e32 v2, 0xffff0000, v3
	v_fmac_f32_e32 v9, v2, v37
	s_mov_b32 s3, 0x7f800000
	v_and_b32_e32 v2, 0x7f800000, v9
	v_cmp_ne_u32_e64 s[4:5], s3, v2
                                        ; implicit-def: $vgpr2
	s_and_saveexec_b64 s[6:7], s[4:5]
	s_xor_b64 s[4:5], exec, s[6:7]
; %bb.239:
	v_bfe_u32 v2, v9, 16, 1
	s_movk_i32 s3, 0x7fff
	v_add3_u32 v2, v9, v2, s3
                                        ; implicit-def: $vgpr9
; %bb.240:
	s_andn2_saveexec_b64 s[6:7], s[4:5]
; %bb.241:
	v_mov_b32_e32 v2, 0
	v_or_b32_e32 v3, 0x10000, v9
	v_cmp_eq_u32_sdwa s[4:5], v9, v2 src0_sel:WORD_0 src1_sel:DWORD
	s_nop 1
	v_cndmask_b32_e64 v2, v3, v9, s[4:5]
; %bb.242:
	s_or_b64 exec, exec, s[6:7]
	v_and_b32_e32 v8, 0xffff0000, v8
	v_lshlrev_b32_e32 v3, 16, v4
	v_fmac_f32_e32 v8, v3, v36
	s_mov_b32 s3, 0x7f800000
	v_and_b32_e32 v3, 0x7f800000, v8
	v_cmp_ne_u32_e64 s[4:5], s3, v3
                                        ; implicit-def: $vgpr3
	s_and_saveexec_b64 s[6:7], s[4:5]
	s_xor_b64 s[4:5], exec, s[6:7]
; %bb.243:
	v_bfe_u32 v3, v8, 16, 1
	s_movk_i32 s3, 0x7fff
	v_add3_u32 v3, v8, v3, s3
                                        ; implicit-def: $vgpr8
; %bb.244:
	s_andn2_saveexec_b64 s[6:7], s[4:5]
; %bb.245:
	v_mov_b32_e32 v3, 0
	v_or_b32_e32 v9, 0x10000, v8
	v_cmp_eq_u32_sdwa s[4:5], v8, v3 src0_sel:WORD_0 src1_sel:DWORD
	s_nop 1
	v_cndmask_b32_e64 v3, v9, v8, s[4:5]
; %bb.246:
	s_or_b64 exec, exec, s[6:7]
	v_and_b32_e32 v8, 0xffff0000, v2
	v_and_b32_e32 v2, 0xffff0000, v4
	v_fmac_f32_e32 v8, v2, v35
	s_mov_b32 s3, 0x7f800000
	v_and_b32_e32 v2, 0x7f800000, v8
	v_cmp_ne_u32_e64 s[4:5], s3, v2
                                        ; implicit-def: $vgpr2
	s_and_saveexec_b64 s[6:7], s[4:5]
	s_xor_b64 s[4:5], exec, s[6:7]
; %bb.247:
	v_bfe_u32 v2, v8, 16, 1
	s_movk_i32 s3, 0x7fff
	v_add3_u32 v2, v8, v2, s3
                                        ; implicit-def: $vgpr8
; %bb.248:
	s_andn2_saveexec_b64 s[6:7], s[4:5]
; %bb.249:
	v_mov_b32_e32 v2, 0
	v_or_b32_e32 v4, 0x10000, v8
	v_cmp_eq_u32_sdwa s[4:5], v8, v2 src0_sel:WORD_0 src1_sel:DWORD
	s_nop 1
	v_cndmask_b32_e64 v2, v4, v8, s[4:5]
; %bb.250:
	s_or_b64 exec, exec, s[6:7]
	v_and_b32_e32 v4, 0xffff0000, v3
	v_lshlrev_b32_e32 v3, 16, v5
	v_fmac_f32_e32 v4, v3, v34
	s_mov_b32 s3, 0x7f800000
	v_and_b32_e32 v3, 0x7f800000, v4
	v_cmp_ne_u32_e64 s[4:5], s3, v3
                                        ; implicit-def: $vgpr3
	s_and_saveexec_b64 s[6:7], s[4:5]
	s_xor_b64 s[4:5], exec, s[6:7]
; %bb.251:
	v_bfe_u32 v3, v4, 16, 1
	s_movk_i32 s3, 0x7fff
	v_add3_u32 v3, v4, v3, s3
                                        ; implicit-def: $vgpr4
; %bb.252:
	s_andn2_saveexec_b64 s[6:7], s[4:5]
; %bb.253:
	v_mov_b32_e32 v3, 0
	v_or_b32_e32 v8, 0x10000, v4
	v_cmp_eq_u32_sdwa s[4:5], v4, v3 src0_sel:WORD_0 src1_sel:DWORD
	s_nop 1
	v_cndmask_b32_e64 v3, v8, v4, s[4:5]
; %bb.254:
	s_or_b64 exec, exec, s[6:7]
	v_and_b32_e32 v2, 0xffff0000, v2
	v_and_b32_e32 v4, 0xffff0000, v5
	v_fmac_f32_e32 v2, v4, v1
	s_mov_b32 s3, 0x7f800000
	v_and_b32_e32 v1, 0x7f800000, v2
	v_cmp_ne_u32_e64 s[4:5], s3, v1
                                        ; implicit-def: $vgpr1
	s_and_saveexec_b64 s[6:7], s[4:5]
	s_xor_b64 s[4:5], exec, s[6:7]
; %bb.255:
	v_bfe_u32 v1, v2, 16, 1
	s_movk_i32 s3, 0x7fff
	v_add3_u32 v1, v2, v1, s3
                                        ; implicit-def: $vgpr2
; %bb.256:
	s_andn2_saveexec_b64 s[6:7], s[4:5]
; %bb.257:
	v_mov_b32_e32 v1, 0
	v_or_b32_e32 v4, 0x10000, v2
	v_cmp_eq_u32_sdwa s[4:5], v2, v1 src0_sel:WORD_0 src1_sel:DWORD
	s_nop 1
	v_cndmask_b32_e64 v1, v4, v2, s[4:5]
; %bb.258:
	s_or_b64 exec, exec, s[6:7]
	v_and_b32_e32 v2, 0xffff0000, v6
	v_and_b32_e32 v4, 0xffff0000, v7
	v_add_f32_e32 v2, v2, v4
	v_and_b32_e32 v4, 0xffff0000, v10
	v_and_b32_e32 v5, 0xffff0000, v11
	v_add_f32_e32 v4, v4, v5
	v_cndmask_b32_e32 v5, 0, v4, vcc
	v_and_b32_e32 v4, 0xffff0000, v14
	v_and_b32_e32 v6, 0xffff0000, v15
	v_add_f32_e32 v4, v4, v6
	v_and_b32_e32 v6, 0xffff0000, v18
	v_and_b32_e32 v7, 0xffff0000, v19
	v_add_f32_e32 v6, v6, v7
	v_cndmask_b32_e32 v7, 0, v6, vcc
	v_and_b32_e32 v6, 0xffff0000, v22
	v_and_b32_e32 v8, 0xffff0000, v23
	v_add_f32_e32 v6, v6, v8
	v_and_b32_e32 v8, 0xffff0000, v26
	v_and_b32_e32 v9, 0xffff0000, v27
	v_add_f32_e32 v8, v8, v9
	v_and_b32_e32 v11, 0xffff0000, v1
	v_mbcnt_lo_u32_b32 v1, -1, 0
	v_cndmask_b32_e32 v9, 0, v8, vcc
	v_and_b32_e32 v8, 0xffff0000, v30
	v_and_b32_e32 v10, 0xffff0000, v31
	v_mbcnt_hi_u32_b32 v21, -1, v1
	v_add_f32_e32 v8, v8, v10
	v_and_b32_e32 v10, 0xffff0000, v3
	v_mov_b32_e32 v12, v11
	v_and_b32_e32 v1, 64, v21
	v_pk_add_f32 v[10:11], v[12:13], v[10:11] op_sel_hi:[0,1]
	v_add_u32_e32 v26, 64, v1
	v_xor_b32_e32 v1, 32, v21
	v_cndmask_b32_e32 v2, 0, v2, vcc
	v_cndmask_b32_e32 v4, 0, v4, vcc
	;; [unrolled: 1-line block ×5, first 2 shown]
	v_cmp_lt_i32_e32 vcc, v1, v26
	v_xor_b32_e32 v18, 8, v21
	v_xor_b32_e32 v19, 4, v21
	v_cndmask_b32_e32 v1, v21, v1, vcc
	v_lshlrev_b32_e32 v1, 2, v1
	ds_bpermute_b32 v12, v1, v6
	ds_bpermute_b32 v13, v1, v7
	;; [unrolled: 1-line block ×8, first 2 shown]
	v_xor_b32_e32 v1, 16, v21
	v_cmp_lt_i32_e32 vcc, v1, v26
	s_waitcnt lgkmcnt(6)
	v_pk_add_f32 v[6:7], v[6:7], v[12:13]
	s_waitcnt lgkmcnt(4)
	v_pk_add_f32 v[8:9], v[8:9], v[10:11]
	v_cndmask_b32_e32 v1, v21, v1, vcc
	v_lshlrev_b32_e32 v1, 2, v1
	ds_bpermute_b32 v12, v1, v6
	ds_bpermute_b32 v13, v1, v7
	v_cmp_lt_i32_e32 vcc, v18, v26
	ds_bpermute_b32 v10, v1, v8
	ds_bpermute_b32 v11, v1, v9
	v_cndmask_b32_e32 v18, v21, v18, vcc
	v_lshlrev_b32_e32 v18, 2, v18
	s_waitcnt lgkmcnt(2)
	v_pk_add_f32 v[6:7], v[6:7], v[12:13]
	ds_bpermute_b32 v12, v18, v6
	ds_bpermute_b32 v13, v18, v7
	v_cmp_lt_i32_e32 vcc, v19, v26
	v_pk_add_f32 v[4:5], v[4:5], v[14:15]
	v_pk_add_f32 v[2:3], v[2:3], v[16:17]
	v_cndmask_b32_e32 v19, v21, v19, vcc
	v_lshlrev_b32_e32 v19, 2, v19
	s_waitcnt lgkmcnt(0)
	v_pk_add_f32 v[6:7], v[6:7], v[12:13]
	ds_bpermute_b32 v14, v1, v4
	ds_bpermute_b32 v15, v1, v5
	;; [unrolled: 1-line block ×6, first 2 shown]
	v_pk_add_f32 v[8:9], v[8:9], v[10:11]
	ds_bpermute_b32 v10, v18, v8
	ds_bpermute_b32 v11, v18, v9
	s_waitcnt lgkmcnt(6)
	v_pk_add_f32 v[4:5], v[4:5], v[14:15]
	s_waitcnt lgkmcnt(4)
	v_pk_add_f32 v[2:3], v[2:3], v[16:17]
	;; [unrolled: 2-line block ×3, first 2 shown]
	ds_bpermute_b32 v12, v18, v4
	ds_bpermute_b32 v13, v18, v5
	;; [unrolled: 1-line block ×4, first 2 shown]
	s_waitcnt lgkmcnt(4)
	v_pk_add_f32 v[8:9], v[8:9], v[10:11]
	ds_bpermute_b32 v10, v19, v8
	ds_bpermute_b32 v11, v19, v9
	v_xor_b32_e32 v20, 2, v21
	s_waitcnt lgkmcnt(4)
	v_pk_add_f32 v[4:5], v[4:5], v[12:13]
	s_waitcnt lgkmcnt(2)
	v_pk_add_f32 v[2:3], v[2:3], v[14:15]
	v_cmp_lt_i32_e32 vcc, v20, v26
	ds_bpermute_b32 v12, v19, v4
	ds_bpermute_b32 v13, v19, v5
	;; [unrolled: 1-line block ×4, first 2 shown]
	v_cndmask_b32_e32 v20, v21, v20, vcc
	v_lshlrev_b32_e32 v20, 2, v20
	s_waitcnt lgkmcnt(4)
	v_pk_add_f32 v[8:9], v[8:9], v[10:11]
	ds_bpermute_b32 v10, v20, v8
	ds_bpermute_b32 v11, v20, v9
	s_waitcnt lgkmcnt(4)
	v_pk_add_f32 v[12:13], v[4:5], v[12:13]
	s_waitcnt lgkmcnt(2)
	v_pk_add_f32 v[14:15], v[2:3], v[14:15]
	ds_bpermute_b32 v16, v20, v6
	ds_bpermute_b32 v17, v20, v7
	;; [unrolled: 1-line block ×6, first 2 shown]
	s_waitcnt lgkmcnt(6)
	v_pk_add_f32 v[8:9], v[8:9], v[10:11]
	v_xor_b32_e32 v10, 1, v21
	v_cmp_lt_i32_e32 vcc, v10, v26
	s_waitcnt lgkmcnt(4)
	v_pk_add_f32 v[4:5], v[6:7], v[16:17]
	s_waitcnt lgkmcnt(2)
	v_pk_add_f32 v[2:3], v[12:13], v[22:23]
	v_cndmask_b32_e32 v10, v21, v10, vcc
	s_waitcnt lgkmcnt(0)
	v_pk_add_f32 v[6:7], v[14:15], v[24:25]
	v_lshlrev_b32_e32 v21, 2, v10
	ds_bpermute_b32 v16, v21, v8
	ds_bpermute_b32 v17, v21, v9
	ds_bpermute_b32 v12, v21, v4
	ds_bpermute_b32 v13, v21, v5
	ds_bpermute_b32 v10, v21, v2
	ds_bpermute_b32 v11, v21, v3
	ds_bpermute_b32 v14, v21, v6
	ds_bpermute_b32 v15, v21, v7
	v_and_b32_e32 v22, 63, v0
	v_cmp_gt_u32_e32 vcc, 8, v22
	s_and_saveexec_b64 s[4:5], vcc
	s_cbranch_execz .LBB6_260
; %bb.259:
	s_waitcnt lgkmcnt(6)
	v_pk_add_f32 v[8:9], v[8:9], v[16:17]
	v_cmp_eq_u32_e32 vcc, 1, v22
	s_waitcnt lgkmcnt(4)
	v_pk_add_f32 v[4:5], v[4:5], v[12:13]
	s_waitcnt lgkmcnt(2)
	v_pk_add_f32 v[2:3], v[2:3], v[10:11]
	v_cndmask_b32_e32 v8, v8, v9, vcc
	v_cmp_eq_u32_e32 vcc, 2, v22
	s_waitcnt lgkmcnt(0)
	v_pk_add_f32 v[6:7], v[6:7], v[14:15]
	v_lshrrev_b32_e32 v10, 4, v0
	v_cndmask_b32_e32 v4, v8, v4, vcc
	v_cmp_eq_u32_e32 vcc, 3, v22
	v_and_b32_e32 v10, 60, v10
	v_lshl_or_b32 v10, v22, 8, v10
	v_cndmask_b32_e32 v4, v4, v5, vcc
	v_cmp_eq_u32_e32 vcc, 4, v22
	s_nop 1
	v_cndmask_b32_e32 v2, v4, v2, vcc
	v_cmp_eq_u32_e32 vcc, 5, v22
	s_nop 1
	;; [unrolled: 3-line block ×4, first 2 shown]
	v_cndmask_b32_e32 v2, v2, v7, vcc
	ds_write_b32 v10, v2
.LBB6_260:
	s_or_b64 exec, exec, s[4:5]
	s_movk_i32 s3, 0x80
	v_cmp_gt_u32_e32 vcc, s3, v0
	s_waitcnt lgkmcnt(0)
	s_barrier
	s_and_saveexec_b64 s[4:5], vcc
	s_cbranch_execz .LBB6_273
; %bb.261:
	s_load_dword s0, s[0:1], 0x2c
	v_and_b32_e32 v3, 15, v0
	v_mov_b32_e32 v2, 0
	s_waitcnt lgkmcnt(0)
	s_and_b32 s0, 0xffff, s0
	s_lshr_b32 s0, s0, 6
	v_cmp_gt_u32_e32 vcc, s0, v3
	s_and_saveexec_b64 s[0:1], vcc
	s_cbranch_execz .LBB6_263
; %bb.262:
	v_lshlrev_b32_e32 v2, 2, v3
	v_lshlrev_b32_e32 v3, 4, v0
	s_movk_i32 s3, 0x3f00
	v_and_or_b32 v2, v3, s3, v2
	ds_read_b32 v2, v2
.LBB6_263:
	s_or_b64 exec, exec, s[0:1]
	s_waitcnt lgkmcnt(0)
	ds_bpermute_b32 v3, v18, v2
	s_waitcnt lgkmcnt(0)
	v_add_f32_e32 v2, v2, v3
	ds_bpermute_b32 v3, v19, v2
	s_waitcnt lgkmcnt(0)
	v_add_f32_e32 v2, v2, v3
	;; [unrolled: 3-line block ×4, first 2 shown]
	ds_bpermute_b32 v1, v1, v3
	v_and_b32_e32 v2, 31, v0
	v_cmp_eq_u32_e32 vcc, 0, v2
	s_and_b64 exec, exec, vcc
	s_cbranch_execz .LBB6_273
; %bb.264:
	s_mov_b32 s0, 0x7f800000
	v_and_b32_e32 v2, 0x7f800000, v3
	v_cmp_ne_u32_e32 vcc, s0, v2
                                        ; implicit-def: $vgpr2
	s_and_saveexec_b64 s[0:1], vcc
	s_xor_b64 s[0:1], exec, s[0:1]
; %bb.265:
	v_bfe_u32 v2, v3, 16, 1
	s_movk_i32 s3, 0x7fff
	v_add3_u32 v2, v3, v2, s3
                                        ; implicit-def: $vgpr3
; %bb.266:
	s_andn2_saveexec_b64 s[0:1], s[0:1]
; %bb.267:
	v_mov_b32_e32 v2, 0
	v_or_b32_e32 v4, 0x10000, v3
	v_cmp_eq_u32_sdwa vcc, v3, v2 src0_sel:WORD_0 src1_sel:DWORD
	s_nop 1
	v_cndmask_b32_e32 v2, v4, v3, vcc
; %bb.268:
	s_or_b64 exec, exec, s[0:1]
	s_mov_b32 s0, 0x7f800000
	s_waitcnt lgkmcnt(0)
	v_and_b32_e32 v3, 0x7f800000, v1
	v_cmp_ne_u32_e32 vcc, s0, v3
                                        ; implicit-def: $vgpr3
	s_and_saveexec_b64 s[0:1], vcc
	s_xor_b64 s[0:1], exec, s[0:1]
; %bb.269:
	v_bfe_u32 v3, v1, 16, 1
	s_movk_i32 s3, 0x7fff
	v_add3_u32 v3, v1, v3, s3
                                        ; implicit-def: $vgpr1
; %bb.270:
	s_andn2_saveexec_b64 s[0:1], s[0:1]
; %bb.271:
	v_mov_b32_e32 v3, 0
	v_or_b32_e32 v4, 0x10000, v1
	v_cmp_eq_u32_sdwa vcc, v1, v3 src0_sel:WORD_0 src1_sel:DWORD
	s_nop 1
	v_cndmask_b32_e32 v3, v4, v1, vcc
; %bb.272:
	s_or_b64 exec, exec, s[0:1]
	s_lshl_b32 s0, s2, 2
	s_and_b32 s0, s0, 0x7ffffffc
	v_lshrrev_b32_e32 v0, 5, v0
	v_mov_b32_e32 v4, s8
	v_mov_b32_e32 v5, s9
	v_or_b32_e32 v0, s0, v0
	v_mov_b32_e32 v1, 0
	s_mov_b32 s0, 0x7060302
	v_lshl_add_u64 v[0:1], v[0:1], 2, v[4:5]
	v_perm_b32 v2, v3, v2, s0
	global_store_dword v[0:1], v2, off
.LBB6_273:
	s_endpgm
	.section	.rodata,"a",@progbits
	.p2align	6, 0x0
	.amdhsa_kernel _Z14LLGemm1_kernelIN3c108BFloat16ELi8EEvPKT_S4_PS2_i
		.amdhsa_group_segment_fixed_size 2048
		.amdhsa_private_segment_fixed_size 0
		.amdhsa_kernarg_size 288
		.amdhsa_user_sgpr_count 2
		.amdhsa_user_sgpr_dispatch_ptr 0
		.amdhsa_user_sgpr_queue_ptr 0
		.amdhsa_user_sgpr_kernarg_segment_ptr 1
		.amdhsa_user_sgpr_dispatch_id 0
		.amdhsa_user_sgpr_kernarg_preload_length 0
		.amdhsa_user_sgpr_kernarg_preload_offset 0
		.amdhsa_user_sgpr_private_segment_size 0
		.amdhsa_uses_dynamic_stack 0
		.amdhsa_enable_private_segment 0
		.amdhsa_system_sgpr_workgroup_id_x 1
		.amdhsa_system_sgpr_workgroup_id_y 0
		.amdhsa_system_sgpr_workgroup_id_z 0
		.amdhsa_system_sgpr_workgroup_info 0
		.amdhsa_system_vgpr_workitem_id 0
		.amdhsa_next_free_vgpr 44
		.amdhsa_next_free_sgpr 14
		.amdhsa_accum_offset 44
		.amdhsa_reserve_vcc 1
		.amdhsa_float_round_mode_32 0
		.amdhsa_float_round_mode_16_64 0
		.amdhsa_float_denorm_mode_32 3
		.amdhsa_float_denorm_mode_16_64 3
		.amdhsa_dx10_clamp 1
		.amdhsa_ieee_mode 1
		.amdhsa_fp16_overflow 0
		.amdhsa_tg_split 0
		.amdhsa_exception_fp_ieee_invalid_op 0
		.amdhsa_exception_fp_denorm_src 0
		.amdhsa_exception_fp_ieee_div_zero 0
		.amdhsa_exception_fp_ieee_overflow 0
		.amdhsa_exception_fp_ieee_underflow 0
		.amdhsa_exception_fp_ieee_inexact 0
		.amdhsa_exception_int_div_zero 0
	.end_amdhsa_kernel
	.section	.text._Z14LLGemm1_kernelIN3c108BFloat16ELi8EEvPKT_S4_PS2_i,"axG",@progbits,_Z14LLGemm1_kernelIN3c108BFloat16ELi8EEvPKT_S4_PS2_i,comdat
.Lfunc_end6:
	.size	_Z14LLGemm1_kernelIN3c108BFloat16ELi8EEvPKT_S4_PS2_i, .Lfunc_end6-_Z14LLGemm1_kernelIN3c108BFloat16ELi8EEvPKT_S4_PS2_i
                                        ; -- End function
	.section	.AMDGPU.csdata,"",@progbits
; Kernel info:
; codeLenInByte = 8784
; NumSgprs: 20
; NumVgprs: 44
; NumAgprs: 0
; TotalNumVgprs: 44
; ScratchSize: 0
; MemoryBound: 0
; FloatMode: 240
; IeeeMode: 1
; LDSByteSize: 2048 bytes/workgroup (compile time only)
; SGPRBlocks: 2
; VGPRBlocks: 5
; NumSGPRsForWavesPerEU: 20
; NumVGPRsForWavesPerEU: 44
; AccumOffset: 44
; Occupancy: 8
; WaveLimiterHint : 0
; COMPUTE_PGM_RSRC2:SCRATCH_EN: 0
; COMPUTE_PGM_RSRC2:USER_SGPR: 2
; COMPUTE_PGM_RSRC2:TRAP_HANDLER: 0
; COMPUTE_PGM_RSRC2:TGID_X_EN: 1
; COMPUTE_PGM_RSRC2:TGID_Y_EN: 0
; COMPUTE_PGM_RSRC2:TGID_Z_EN: 0
; COMPUTE_PGM_RSRC2:TIDIG_COMP_CNT: 0
; COMPUTE_PGM_RSRC3_GFX90A:ACCUM_OFFSET: 10
; COMPUTE_PGM_RSRC3_GFX90A:TG_SPLIT: 0
	.section	.text._Z14LLGemm1_kernelIN3c108BFloat16ELi16EEvPKT_S4_PS2_i,"axG",@progbits,_Z14LLGemm1_kernelIN3c108BFloat16ELi16EEvPKT_S4_PS2_i,comdat
	.protected	_Z14LLGemm1_kernelIN3c108BFloat16ELi16EEvPKT_S4_PS2_i ; -- Begin function _Z14LLGemm1_kernelIN3c108BFloat16ELi16EEvPKT_S4_PS2_i
	.globl	_Z14LLGemm1_kernelIN3c108BFloat16ELi16EEvPKT_S4_PS2_i
	.p2align	8
	.type	_Z14LLGemm1_kernelIN3c108BFloat16ELi16EEvPKT_S4_PS2_i,@function
_Z14LLGemm1_kernelIN3c108BFloat16ELi16EEvPKT_S4_PS2_i: ; @_Z14LLGemm1_kernelIN3c108BFloat16ELi16EEvPKT_S4_PS2_i
; %bb.0:
	s_load_dword s3, s[0:1], 0x18
	s_load_dwordx4 s[4:7], s[0:1], 0x0
	s_load_dwordx2 s[8:9], s[0:1], 0x10
	v_lshlrev_b32_e32 v1, 3, v0
	s_mov_b32 s13, 0
	s_waitcnt lgkmcnt(0)
	v_cmp_gt_i32_e32 vcc, s3, v1
	v_mov_b32_e32 v1, 0
	v_mov_b32_e32 v66, 0
	;; [unrolled: 1-line block ×8, first 2 shown]
                                        ; implicit-def: $vgpr2
                                        ; implicit-def: $vgpr6
                                        ; implicit-def: $vgpr10
                                        ; implicit-def: $vgpr14
                                        ; implicit-def: $vgpr18
                                        ; implicit-def: $vgpr22
                                        ; implicit-def: $vgpr26
                                        ; implicit-def: $vgpr30
                                        ; implicit-def: $vgpr34
                                        ; implicit-def: $vgpr38
                                        ; implicit-def: $vgpr42
                                        ; implicit-def: $vgpr46
                                        ; implicit-def: $vgpr50
                                        ; implicit-def: $vgpr54
                                        ; implicit-def: $vgpr58
                                        ; implicit-def: $vgpr62
	s_and_saveexec_b64 s[10:11], vcc
	s_cbranch_execz .LBB7_2
; %bb.1:
	v_lshlrev_b32_e32 v1, 4, v0
	global_load_dwordx4 v[72:75], v1, s[6:7]
	s_mul_i32 s6, s2, s3
	s_lshl_b32 s6, s6, 1
	s_lshr_b32 s12, s3, 3
	s_and_b32 s6, s6, 0x1ffffffe
	s_add_i32 s7, s12, s12
	v_add_u32_e32 v2, s6, v0
	v_add_u32_e32 v4, s7, v2
	;; [unrolled: 1-line block ×4, first 2 shown]
	v_mov_b32_e32 v3, 0
	v_add_u32_e32 v10, s12, v8
	s_and_b32 s3, s3, -8
	v_mov_b32_e32 v5, v3
	v_mov_b32_e32 v7, v3
	;; [unrolled: 1-line block ×3, first 2 shown]
	v_lshl_add_u64 v[16:17], v[2:3], 4, s[4:5]
	v_add_u32_e32 v12, s12, v10
	v_mov_b32_e32 v11, v3
	v_mov_b32_e32 v13, v3
	v_add_u32_e32 v2, s3, v2
	v_lshl_add_u64 v[18:19], s[12:13], 4, v[16:17]
	v_lshl_add_u64 v[20:21], v[4:5], 4, s[4:5]
	global_load_dwordx4 v[62:65], v[16:17], off nt
	global_load_dwordx4 v[58:61], v[18:19], off nt
	v_lshl_add_u64 v[16:17], v[6:7], 4, s[4:5]
	v_lshl_add_u64 v[6:7], v[8:9], 4, s[4:5]
	v_add_u32_e32 v14, s12, v12
	v_mov_b32_e32 v15, v3
	v_lshl_add_u64 v[4:5], v[2:3], 4, s[4:5]
	global_load_dwordx4 v[54:57], v[20:21], off nt
	global_load_dwordx4 v[50:53], v[16:17], off nt
	v_lshl_add_u64 v[8:9], v[10:11], 4, s[4:5]
	global_load_dwordx4 v[46:49], v[6:7], off nt
	global_load_dwordx4 v[42:45], v[8:9], off nt
	v_lshl_add_u64 v[6:7], v[12:13], 4, s[4:5]
	v_lshl_add_u32 v2, s12, 1, v14
	v_lshl_add_u64 v[8:9], v[14:15], 4, s[4:5]
	global_load_dwordx4 v[38:41], v[6:7], off nt
	global_load_dwordx4 v[34:37], v[8:9], off nt
	v_lshl_add_u64 v[6:7], v[2:3], 4, s[4:5]
	v_add_u32_e32 v2, s12, v2
	v_lshl_add_u64 v[8:9], v[2:3], 4, s[4:5]
	v_add_u32_e32 v2, s12, v2
	global_load_dwordx4 v[30:33], v[4:5], off nt
	global_load_dwordx4 v[26:29], v[6:7], off nt
	v_lshl_add_u64 v[4:5], v[2:3], 4, s[4:5]
	v_add_u32_e32 v2, s12, v2
	v_lshl_add_u64 v[6:7], v[2:3], 4, s[4:5]
	v_add_u32_e32 v2, s12, v2
	;; [unrolled: 2-line block ×4, first 2 shown]
	v_lshl_add_u64 v[2:3], v[2:3], 4, s[4:5]
	global_load_dwordx4 v[22:25], v[8:9], off nt
	global_load_dwordx4 v[18:21], v[4:5], off nt
	;; [unrolled: 1-line block ×3, first 2 shown]
	s_nop 0
	global_load_dwordx4 v[10:13], v[10:11], off nt
	s_nop 0
	global_load_dwordx4 v[6:9], v[66:67], off nt
	;; [unrolled: 2-line block ×3, first 2 shown]
	s_waitcnt vmcnt(16)
	v_and_b32_e32 v71, 0xffff0000, v72
	v_lshlrev_b32_e32 v72, 16, v72
	v_and_b32_e32 v69, 0xffff0000, v73
	v_lshlrev_b32_e32 v70, 16, v73
	;; [unrolled: 2-line block ×4, first 2 shown]
.LBB7_2:
	s_or_b64 exec, exec, s[10:11]
	s_waitcnt vmcnt(15)
	v_lshlrev_b32_e32 v73, 16, v62
	v_mul_f32_e32 v74, v72, v73
	s_mov_b32 s3, 0x7f800000
	v_and_b32_e32 v73, 0x7f800000, v74
	v_cmp_ne_u32_e64 s[4:5], s3, v73
                                        ; implicit-def: $vgpr73
	s_and_saveexec_b64 s[6:7], s[4:5]
	s_xor_b64 s[4:5], exec, s[6:7]
; %bb.3:
	v_bfe_u32 v73, v74, 16, 1
	s_movk_i32 s3, 0x7fff
	v_add3_u32 v73, v74, v73, s3
                                        ; implicit-def: $vgpr74
; %bb.4:
	s_andn2_saveexec_b64 s[6:7], s[4:5]
; %bb.5:
	v_mov_b32_e32 v73, 0
	v_or_b32_e32 v75, 0x10000, v74
	v_cmp_eq_u32_sdwa s[4:5], v74, v73 src0_sel:WORD_0 src1_sel:DWORD
	s_nop 1
	v_cndmask_b32_e64 v73, v75, v74, s[4:5]
; %bb.6:
	s_or_b64 exec, exec, s[6:7]
	v_and_b32_e32 v62, 0xffff0000, v62
	v_mul_f32_e32 v74, v71, v62
	s_mov_b32 s3, 0x7f800000
	v_and_b32_e32 v62, 0x7f800000, v74
	v_cmp_ne_u32_e64 s[4:5], s3, v62
                                        ; implicit-def: $vgpr62
	s_and_saveexec_b64 s[6:7], s[4:5]
	s_xor_b64 s[4:5], exec, s[6:7]
; %bb.7:
	v_bfe_u32 v62, v74, 16, 1
	s_movk_i32 s3, 0x7fff
	v_add3_u32 v62, v74, v62, s3
                                        ; implicit-def: $vgpr74
; %bb.8:
	s_andn2_saveexec_b64 s[6:7], s[4:5]
; %bb.9:
	v_mov_b32_e32 v62, 0
	v_or_b32_e32 v75, 0x10000, v74
	v_cmp_eq_u32_sdwa s[4:5], v74, v62 src0_sel:WORD_0 src1_sel:DWORD
	s_nop 1
	v_cndmask_b32_e64 v62, v75, v74, s[4:5]
; %bb.10:
	s_or_b64 exec, exec, s[6:7]
	v_and_b32_e32 v74, 0xffff0000, v73
	v_lshlrev_b32_e32 v73, 16, v63
	v_fmac_f32_e32 v74, v73, v70
	s_mov_b32 s3, 0x7f800000
	v_and_b32_e32 v73, 0x7f800000, v74
	v_cmp_ne_u32_e64 s[4:5], s3, v73
                                        ; implicit-def: $vgpr73
	s_and_saveexec_b64 s[6:7], s[4:5]
	s_xor_b64 s[4:5], exec, s[6:7]
; %bb.11:
	v_bfe_u32 v73, v74, 16, 1
	s_movk_i32 s3, 0x7fff
	v_add3_u32 v73, v74, v73, s3
                                        ; implicit-def: $vgpr74
; %bb.12:
	s_andn2_saveexec_b64 s[6:7], s[4:5]
; %bb.13:
	v_mov_b32_e32 v73, 0
	v_or_b32_e32 v75, 0x10000, v74
	v_cmp_eq_u32_sdwa s[4:5], v74, v73 src0_sel:WORD_0 src1_sel:DWORD
	s_nop 1
	v_cndmask_b32_e64 v73, v75, v74, s[4:5]
; %bb.14:
	s_or_b64 exec, exec, s[6:7]
	v_and_b32_e32 v74, 0xffff0000, v62
	v_and_b32_e32 v62, 0xffff0000, v63
	v_fmac_f32_e32 v74, v62, v69
	s_mov_b32 s3, 0x7f800000
	v_and_b32_e32 v62, 0x7f800000, v74
	v_cmp_ne_u32_e64 s[4:5], s3, v62
                                        ; implicit-def: $vgpr62
	s_and_saveexec_b64 s[6:7], s[4:5]
	s_xor_b64 s[4:5], exec, s[6:7]
; %bb.15:
	v_bfe_u32 v62, v74, 16, 1
	s_movk_i32 s3, 0x7fff
	v_add3_u32 v62, v74, v62, s3
                                        ; implicit-def: $vgpr74
; %bb.16:
	s_andn2_saveexec_b64 s[6:7], s[4:5]
; %bb.17:
	v_mov_b32_e32 v62, 0
	v_or_b32_e32 v63, 0x10000, v74
	v_cmp_eq_u32_sdwa s[4:5], v74, v62 src0_sel:WORD_0 src1_sel:DWORD
	s_nop 1
	v_cndmask_b32_e64 v62, v63, v74, s[4:5]
; %bb.18:
	s_or_b64 exec, exec, s[6:7]
	v_and_b32_e32 v73, 0xffff0000, v73
	v_lshlrev_b32_e32 v63, 16, v64
	v_fmac_f32_e32 v73, v63, v68
	s_mov_b32 s3, 0x7f800000
	v_and_b32_e32 v63, 0x7f800000, v73
	v_cmp_ne_u32_e64 s[4:5], s3, v63
                                        ; implicit-def: $vgpr63
	s_and_saveexec_b64 s[6:7], s[4:5]
	s_xor_b64 s[4:5], exec, s[6:7]
; %bb.19:
	v_bfe_u32 v63, v73, 16, 1
	s_movk_i32 s3, 0x7fff
	v_add3_u32 v63, v73, v63, s3
                                        ; implicit-def: $vgpr73
; %bb.20:
	s_andn2_saveexec_b64 s[6:7], s[4:5]
; %bb.21:
	v_mov_b32_e32 v63, 0
	v_or_b32_e32 v74, 0x10000, v73
	v_cmp_eq_u32_sdwa s[4:5], v73, v63 src0_sel:WORD_0 src1_sel:DWORD
	s_nop 1
	v_cndmask_b32_e64 v63, v74, v73, s[4:5]
; %bb.22:
	s_or_b64 exec, exec, s[6:7]
	v_and_b32_e32 v62, 0xffff0000, v62
	v_and_b32_e32 v64, 0xffff0000, v64
	v_fmac_f32_e32 v62, v64, v67
	s_mov_b32 s3, 0x7f800000
	v_and_b32_e32 v64, 0x7f800000, v62
	v_cmp_ne_u32_e64 s[4:5], s3, v64
                                        ; implicit-def: $vgpr64
	s_and_saveexec_b64 s[6:7], s[4:5]
	s_xor_b64 s[4:5], exec, s[6:7]
; %bb.23:
	v_bfe_u32 v64, v62, 16, 1
	s_movk_i32 s3, 0x7fff
	v_add3_u32 v64, v62, v64, s3
                                        ; implicit-def: $vgpr62
; %bb.24:
	s_andn2_saveexec_b64 s[6:7], s[4:5]
; %bb.25:
	v_mov_b32_e32 v64, 0
	v_or_b32_e32 v73, 0x10000, v62
	v_cmp_eq_u32_sdwa s[4:5], v62, v64 src0_sel:WORD_0 src1_sel:DWORD
	s_nop 1
	v_cndmask_b32_e64 v64, v73, v62, s[4:5]
; %bb.26:
	s_or_b64 exec, exec, s[6:7]
	v_and_b32_e32 v63, 0xffff0000, v63
	v_lshlrev_b32_e32 v62, 16, v65
	v_fmac_f32_e32 v63, v62, v1
	s_mov_b32 s3, 0x7f800000
	v_and_b32_e32 v62, 0x7f800000, v63
	v_cmp_ne_u32_e64 s[4:5], s3, v62
                                        ; implicit-def: $vgpr62
	s_and_saveexec_b64 s[6:7], s[4:5]
	s_xor_b64 s[4:5], exec, s[6:7]
; %bb.27:
	v_bfe_u32 v62, v63, 16, 1
	s_movk_i32 s3, 0x7fff
	v_add3_u32 v62, v63, v62, s3
                                        ; implicit-def: $vgpr63
; %bb.28:
	s_andn2_saveexec_b64 s[6:7], s[4:5]
; %bb.29:
	v_mov_b32_e32 v62, 0
	v_or_b32_e32 v73, 0x10000, v63
	v_cmp_eq_u32_sdwa s[4:5], v63, v62 src0_sel:WORD_0 src1_sel:DWORD
	s_nop 1
	v_cndmask_b32_e64 v62, v73, v63, s[4:5]
; %bb.30:
	s_or_b64 exec, exec, s[6:7]
	v_and_b32_e32 v64, 0xffff0000, v64
	v_and_b32_e32 v63, 0xffff0000, v65
	v_fmac_f32_e32 v64, v63, v66
	s_mov_b32 s3, 0x7f800000
	v_and_b32_e32 v63, 0x7f800000, v64
	v_cmp_ne_u32_e64 s[4:5], s3, v63
                                        ; implicit-def: $vgpr63
	s_and_saveexec_b64 s[6:7], s[4:5]
	s_xor_b64 s[4:5], exec, s[6:7]
; %bb.31:
	v_bfe_u32 v63, v64, 16, 1
	s_movk_i32 s3, 0x7fff
	v_add3_u32 v63, v64, v63, s3
                                        ; implicit-def: $vgpr64
; %bb.32:
	s_andn2_saveexec_b64 s[6:7], s[4:5]
; %bb.33:
	v_mov_b32_e32 v63, 0
	v_or_b32_e32 v65, 0x10000, v64
	v_cmp_eq_u32_sdwa s[4:5], v64, v63 src0_sel:WORD_0 src1_sel:DWORD
	s_nop 1
	v_cndmask_b32_e64 v63, v65, v64, s[4:5]
; %bb.34:
	s_or_b64 exec, exec, s[6:7]
	s_waitcnt vmcnt(14)
	v_lshlrev_b32_e32 v64, 16, v58
	v_mul_f32_e32 v65, v72, v64
	s_mov_b32 s3, 0x7f800000
	v_and_b32_e32 v64, 0x7f800000, v65
	v_cmp_ne_u32_e64 s[4:5], s3, v64
                                        ; implicit-def: $vgpr64
	s_and_saveexec_b64 s[6:7], s[4:5]
	s_xor_b64 s[4:5], exec, s[6:7]
; %bb.35:
	v_bfe_u32 v64, v65, 16, 1
	s_movk_i32 s3, 0x7fff
	v_add3_u32 v64, v65, v64, s3
                                        ; implicit-def: $vgpr65
; %bb.36:
	s_andn2_saveexec_b64 s[6:7], s[4:5]
; %bb.37:
	v_mov_b32_e32 v64, 0
	v_or_b32_e32 v73, 0x10000, v65
	v_cmp_eq_u32_sdwa s[4:5], v65, v64 src0_sel:WORD_0 src1_sel:DWORD
	s_nop 1
	v_cndmask_b32_e64 v64, v73, v65, s[4:5]
; %bb.38:
	s_or_b64 exec, exec, s[6:7]
	v_and_b32_e32 v58, 0xffff0000, v58
	v_mul_f32_e32 v65, v71, v58
	s_mov_b32 s3, 0x7f800000
	v_and_b32_e32 v58, 0x7f800000, v65
	v_cmp_ne_u32_e64 s[4:5], s3, v58
                                        ; implicit-def: $vgpr58
	s_and_saveexec_b64 s[6:7], s[4:5]
	s_xor_b64 s[4:5], exec, s[6:7]
; %bb.39:
	v_bfe_u32 v58, v65, 16, 1
	s_movk_i32 s3, 0x7fff
	v_add3_u32 v58, v65, v58, s3
                                        ; implicit-def: $vgpr65
; %bb.40:
	s_andn2_saveexec_b64 s[6:7], s[4:5]
; %bb.41:
	v_mov_b32_e32 v58, 0
	v_or_b32_e32 v73, 0x10000, v65
	v_cmp_eq_u32_sdwa s[4:5], v65, v58 src0_sel:WORD_0 src1_sel:DWORD
	s_nop 1
	v_cndmask_b32_e64 v58, v73, v65, s[4:5]
; %bb.42:
	s_or_b64 exec, exec, s[6:7]
	v_and_b32_e32 v65, 0xffff0000, v64
	v_lshlrev_b32_e32 v64, 16, v59
	v_fmac_f32_e32 v65, v64, v70
	s_mov_b32 s3, 0x7f800000
	v_and_b32_e32 v64, 0x7f800000, v65
	v_cmp_ne_u32_e64 s[4:5], s3, v64
                                        ; implicit-def: $vgpr64
	s_and_saveexec_b64 s[6:7], s[4:5]
	s_xor_b64 s[4:5], exec, s[6:7]
; %bb.43:
	v_bfe_u32 v64, v65, 16, 1
	s_movk_i32 s3, 0x7fff
	v_add3_u32 v64, v65, v64, s3
                                        ; implicit-def: $vgpr65
; %bb.44:
	s_andn2_saveexec_b64 s[6:7], s[4:5]
; %bb.45:
	v_mov_b32_e32 v64, 0
	v_or_b32_e32 v73, 0x10000, v65
	v_cmp_eq_u32_sdwa s[4:5], v65, v64 src0_sel:WORD_0 src1_sel:DWORD
	s_nop 1
	v_cndmask_b32_e64 v64, v73, v65, s[4:5]
; %bb.46:
	s_or_b64 exec, exec, s[6:7]
	v_and_b32_e32 v65, 0xffff0000, v58
	v_and_b32_e32 v58, 0xffff0000, v59
	v_fmac_f32_e32 v65, v58, v69
	s_mov_b32 s3, 0x7f800000
	v_and_b32_e32 v58, 0x7f800000, v65
	v_cmp_ne_u32_e64 s[4:5], s3, v58
                                        ; implicit-def: $vgpr58
	s_and_saveexec_b64 s[6:7], s[4:5]
	s_xor_b64 s[4:5], exec, s[6:7]
; %bb.47:
	v_bfe_u32 v58, v65, 16, 1
	s_movk_i32 s3, 0x7fff
	v_add3_u32 v58, v65, v58, s3
                                        ; implicit-def: $vgpr65
; %bb.48:
	s_andn2_saveexec_b64 s[6:7], s[4:5]
; %bb.49:
	v_mov_b32_e32 v58, 0
	v_or_b32_e32 v59, 0x10000, v65
	v_cmp_eq_u32_sdwa s[4:5], v65, v58 src0_sel:WORD_0 src1_sel:DWORD
	s_nop 1
	v_cndmask_b32_e64 v58, v59, v65, s[4:5]
; %bb.50:
	s_or_b64 exec, exec, s[6:7]
	v_and_b32_e32 v64, 0xffff0000, v64
	v_lshlrev_b32_e32 v59, 16, v60
	v_fmac_f32_e32 v64, v59, v68
	s_mov_b32 s3, 0x7f800000
	v_and_b32_e32 v59, 0x7f800000, v64
	v_cmp_ne_u32_e64 s[4:5], s3, v59
                                        ; implicit-def: $vgpr59
	s_and_saveexec_b64 s[6:7], s[4:5]
	s_xor_b64 s[4:5], exec, s[6:7]
; %bb.51:
	v_bfe_u32 v59, v64, 16, 1
	s_movk_i32 s3, 0x7fff
	v_add3_u32 v59, v64, v59, s3
                                        ; implicit-def: $vgpr64
; %bb.52:
	s_andn2_saveexec_b64 s[6:7], s[4:5]
; %bb.53:
	v_mov_b32_e32 v59, 0
	v_or_b32_e32 v65, 0x10000, v64
	v_cmp_eq_u32_sdwa s[4:5], v64, v59 src0_sel:WORD_0 src1_sel:DWORD
	s_nop 1
	v_cndmask_b32_e64 v59, v65, v64, s[4:5]
; %bb.54:
	s_or_b64 exec, exec, s[6:7]
	v_and_b32_e32 v58, 0xffff0000, v58
	v_and_b32_e32 v60, 0xffff0000, v60
	v_fmac_f32_e32 v58, v60, v67
	s_mov_b32 s3, 0x7f800000
	v_and_b32_e32 v60, 0x7f800000, v58
	v_cmp_ne_u32_e64 s[4:5], s3, v60
                                        ; implicit-def: $vgpr60
	s_and_saveexec_b64 s[6:7], s[4:5]
	s_xor_b64 s[4:5], exec, s[6:7]
; %bb.55:
	v_bfe_u32 v60, v58, 16, 1
	s_movk_i32 s3, 0x7fff
	v_add3_u32 v60, v58, v60, s3
                                        ; implicit-def: $vgpr58
; %bb.56:
	s_andn2_saveexec_b64 s[6:7], s[4:5]
; %bb.57:
	v_mov_b32_e32 v60, 0
	v_or_b32_e32 v64, 0x10000, v58
	v_cmp_eq_u32_sdwa s[4:5], v58, v60 src0_sel:WORD_0 src1_sel:DWORD
	s_nop 1
	v_cndmask_b32_e64 v60, v64, v58, s[4:5]
; %bb.58:
	s_or_b64 exec, exec, s[6:7]
	v_and_b32_e32 v59, 0xffff0000, v59
	v_lshlrev_b32_e32 v58, 16, v61
	v_fmac_f32_e32 v59, v58, v1
	s_mov_b32 s3, 0x7f800000
	v_and_b32_e32 v58, 0x7f800000, v59
	v_cmp_ne_u32_e64 s[4:5], s3, v58
                                        ; implicit-def: $vgpr58
	s_and_saveexec_b64 s[6:7], s[4:5]
	s_xor_b64 s[4:5], exec, s[6:7]
; %bb.59:
	v_bfe_u32 v58, v59, 16, 1
	s_movk_i32 s3, 0x7fff
	v_add3_u32 v58, v59, v58, s3
                                        ; implicit-def: $vgpr59
; %bb.60:
	s_andn2_saveexec_b64 s[6:7], s[4:5]
; %bb.61:
	v_mov_b32_e32 v58, 0
	v_or_b32_e32 v64, 0x10000, v59
	v_cmp_eq_u32_sdwa s[4:5], v59, v58 src0_sel:WORD_0 src1_sel:DWORD
	s_nop 1
	v_cndmask_b32_e64 v58, v64, v59, s[4:5]
; %bb.62:
	s_or_b64 exec, exec, s[6:7]
	v_and_b32_e32 v60, 0xffff0000, v60
	v_and_b32_e32 v59, 0xffff0000, v61
	v_fmac_f32_e32 v60, v59, v66
	s_mov_b32 s3, 0x7f800000
	v_and_b32_e32 v59, 0x7f800000, v60
	v_cmp_ne_u32_e64 s[4:5], s3, v59
                                        ; implicit-def: $vgpr59
	s_and_saveexec_b64 s[6:7], s[4:5]
	s_xor_b64 s[4:5], exec, s[6:7]
; %bb.63:
	v_bfe_u32 v59, v60, 16, 1
	s_movk_i32 s3, 0x7fff
	v_add3_u32 v59, v60, v59, s3
                                        ; implicit-def: $vgpr60
; %bb.64:
	s_andn2_saveexec_b64 s[6:7], s[4:5]
; %bb.65:
	v_mov_b32_e32 v59, 0
	v_or_b32_e32 v61, 0x10000, v60
	v_cmp_eq_u32_sdwa s[4:5], v60, v59 src0_sel:WORD_0 src1_sel:DWORD
	s_nop 1
	v_cndmask_b32_e64 v59, v61, v60, s[4:5]
; %bb.66:
	s_or_b64 exec, exec, s[6:7]
	s_waitcnt vmcnt(13)
	v_lshlrev_b32_e32 v60, 16, v54
	v_mul_f32_e32 v61, v72, v60
	s_mov_b32 s3, 0x7f800000
	v_and_b32_e32 v60, 0x7f800000, v61
	v_cmp_ne_u32_e64 s[4:5], s3, v60
                                        ; implicit-def: $vgpr60
	s_and_saveexec_b64 s[6:7], s[4:5]
	s_xor_b64 s[4:5], exec, s[6:7]
; %bb.67:
	v_bfe_u32 v60, v61, 16, 1
	s_movk_i32 s3, 0x7fff
	v_add3_u32 v60, v61, v60, s3
                                        ; implicit-def: $vgpr61
; %bb.68:
	s_andn2_saveexec_b64 s[6:7], s[4:5]
; %bb.69:
	v_mov_b32_e32 v60, 0
	v_or_b32_e32 v64, 0x10000, v61
	v_cmp_eq_u32_sdwa s[4:5], v61, v60 src0_sel:WORD_0 src1_sel:DWORD
	s_nop 1
	v_cndmask_b32_e64 v60, v64, v61, s[4:5]
; %bb.70:
	s_or_b64 exec, exec, s[6:7]
	v_and_b32_e32 v54, 0xffff0000, v54
	v_mul_f32_e32 v61, v71, v54
	s_mov_b32 s3, 0x7f800000
	v_and_b32_e32 v54, 0x7f800000, v61
	v_cmp_ne_u32_e64 s[4:5], s3, v54
                                        ; implicit-def: $vgpr54
	s_and_saveexec_b64 s[6:7], s[4:5]
	s_xor_b64 s[4:5], exec, s[6:7]
; %bb.71:
	v_bfe_u32 v54, v61, 16, 1
	s_movk_i32 s3, 0x7fff
	v_add3_u32 v54, v61, v54, s3
                                        ; implicit-def: $vgpr61
; %bb.72:
	s_andn2_saveexec_b64 s[6:7], s[4:5]
; %bb.73:
	v_mov_b32_e32 v54, 0
	v_or_b32_e32 v64, 0x10000, v61
	v_cmp_eq_u32_sdwa s[4:5], v61, v54 src0_sel:WORD_0 src1_sel:DWORD
	s_nop 1
	v_cndmask_b32_e64 v54, v64, v61, s[4:5]
; %bb.74:
	s_or_b64 exec, exec, s[6:7]
	v_and_b32_e32 v61, 0xffff0000, v60
	v_lshlrev_b32_e32 v60, 16, v55
	v_fmac_f32_e32 v61, v60, v70
	s_mov_b32 s3, 0x7f800000
	v_and_b32_e32 v60, 0x7f800000, v61
	v_cmp_ne_u32_e64 s[4:5], s3, v60
                                        ; implicit-def: $vgpr60
	s_and_saveexec_b64 s[6:7], s[4:5]
	s_xor_b64 s[4:5], exec, s[6:7]
; %bb.75:
	v_bfe_u32 v60, v61, 16, 1
	s_movk_i32 s3, 0x7fff
	v_add3_u32 v60, v61, v60, s3
                                        ; implicit-def: $vgpr61
; %bb.76:
	s_andn2_saveexec_b64 s[6:7], s[4:5]
; %bb.77:
	v_mov_b32_e32 v60, 0
	v_or_b32_e32 v64, 0x10000, v61
	v_cmp_eq_u32_sdwa s[4:5], v61, v60 src0_sel:WORD_0 src1_sel:DWORD
	s_nop 1
	v_cndmask_b32_e64 v60, v64, v61, s[4:5]
; %bb.78:
	s_or_b64 exec, exec, s[6:7]
	v_and_b32_e32 v61, 0xffff0000, v54
	v_and_b32_e32 v54, 0xffff0000, v55
	v_fmac_f32_e32 v61, v54, v69
	s_mov_b32 s3, 0x7f800000
	v_and_b32_e32 v54, 0x7f800000, v61
	v_cmp_ne_u32_e64 s[4:5], s3, v54
                                        ; implicit-def: $vgpr54
	s_and_saveexec_b64 s[6:7], s[4:5]
	s_xor_b64 s[4:5], exec, s[6:7]
; %bb.79:
	v_bfe_u32 v54, v61, 16, 1
	s_movk_i32 s3, 0x7fff
	v_add3_u32 v54, v61, v54, s3
                                        ; implicit-def: $vgpr61
; %bb.80:
	s_andn2_saveexec_b64 s[6:7], s[4:5]
; %bb.81:
	v_mov_b32_e32 v54, 0
	v_or_b32_e32 v55, 0x10000, v61
	v_cmp_eq_u32_sdwa s[4:5], v61, v54 src0_sel:WORD_0 src1_sel:DWORD
	s_nop 1
	v_cndmask_b32_e64 v54, v55, v61, s[4:5]
; %bb.82:
	s_or_b64 exec, exec, s[6:7]
	v_and_b32_e32 v60, 0xffff0000, v60
	v_lshlrev_b32_e32 v55, 16, v56
	v_fmac_f32_e32 v60, v55, v68
	s_mov_b32 s3, 0x7f800000
	v_and_b32_e32 v55, 0x7f800000, v60
	v_cmp_ne_u32_e64 s[4:5], s3, v55
                                        ; implicit-def: $vgpr55
	s_and_saveexec_b64 s[6:7], s[4:5]
	s_xor_b64 s[4:5], exec, s[6:7]
; %bb.83:
	v_bfe_u32 v55, v60, 16, 1
	s_movk_i32 s3, 0x7fff
	v_add3_u32 v55, v60, v55, s3
                                        ; implicit-def: $vgpr60
; %bb.84:
	s_andn2_saveexec_b64 s[6:7], s[4:5]
; %bb.85:
	v_mov_b32_e32 v55, 0
	v_or_b32_e32 v61, 0x10000, v60
	v_cmp_eq_u32_sdwa s[4:5], v60, v55 src0_sel:WORD_0 src1_sel:DWORD
	s_nop 1
	v_cndmask_b32_e64 v55, v61, v60, s[4:5]
; %bb.86:
	s_or_b64 exec, exec, s[6:7]
	v_and_b32_e32 v54, 0xffff0000, v54
	v_and_b32_e32 v56, 0xffff0000, v56
	v_fmac_f32_e32 v54, v56, v67
	s_mov_b32 s3, 0x7f800000
	v_and_b32_e32 v56, 0x7f800000, v54
	v_cmp_ne_u32_e64 s[4:5], s3, v56
                                        ; implicit-def: $vgpr56
	s_and_saveexec_b64 s[6:7], s[4:5]
	s_xor_b64 s[4:5], exec, s[6:7]
; %bb.87:
	v_bfe_u32 v56, v54, 16, 1
	s_movk_i32 s3, 0x7fff
	v_add3_u32 v56, v54, v56, s3
                                        ; implicit-def: $vgpr54
; %bb.88:
	s_andn2_saveexec_b64 s[6:7], s[4:5]
; %bb.89:
	v_mov_b32_e32 v56, 0
	v_or_b32_e32 v60, 0x10000, v54
	v_cmp_eq_u32_sdwa s[4:5], v54, v56 src0_sel:WORD_0 src1_sel:DWORD
	s_nop 1
	v_cndmask_b32_e64 v56, v60, v54, s[4:5]
; %bb.90:
	s_or_b64 exec, exec, s[6:7]
	v_and_b32_e32 v55, 0xffff0000, v55
	v_lshlrev_b32_e32 v54, 16, v57
	v_fmac_f32_e32 v55, v54, v1
	s_mov_b32 s3, 0x7f800000
	v_and_b32_e32 v54, 0x7f800000, v55
	v_cmp_ne_u32_e64 s[4:5], s3, v54
                                        ; implicit-def: $vgpr54
	s_and_saveexec_b64 s[6:7], s[4:5]
	s_xor_b64 s[4:5], exec, s[6:7]
; %bb.91:
	v_bfe_u32 v54, v55, 16, 1
	s_movk_i32 s3, 0x7fff
	v_add3_u32 v54, v55, v54, s3
                                        ; implicit-def: $vgpr55
; %bb.92:
	s_andn2_saveexec_b64 s[6:7], s[4:5]
; %bb.93:
	v_mov_b32_e32 v54, 0
	v_or_b32_e32 v60, 0x10000, v55
	v_cmp_eq_u32_sdwa s[4:5], v55, v54 src0_sel:WORD_0 src1_sel:DWORD
	s_nop 1
	v_cndmask_b32_e64 v54, v60, v55, s[4:5]
; %bb.94:
	s_or_b64 exec, exec, s[6:7]
	v_and_b32_e32 v56, 0xffff0000, v56
	v_and_b32_e32 v55, 0xffff0000, v57
	v_fmac_f32_e32 v56, v55, v66
	s_mov_b32 s3, 0x7f800000
	v_and_b32_e32 v55, 0x7f800000, v56
	v_cmp_ne_u32_e64 s[4:5], s3, v55
                                        ; implicit-def: $vgpr55
	s_and_saveexec_b64 s[6:7], s[4:5]
	s_xor_b64 s[4:5], exec, s[6:7]
; %bb.95:
	v_bfe_u32 v55, v56, 16, 1
	s_movk_i32 s3, 0x7fff
	v_add3_u32 v55, v56, v55, s3
                                        ; implicit-def: $vgpr56
; %bb.96:
	s_andn2_saveexec_b64 s[6:7], s[4:5]
; %bb.97:
	v_mov_b32_e32 v55, 0
	v_or_b32_e32 v57, 0x10000, v56
	v_cmp_eq_u32_sdwa s[4:5], v56, v55 src0_sel:WORD_0 src1_sel:DWORD
	s_nop 1
	v_cndmask_b32_e64 v55, v57, v56, s[4:5]
; %bb.98:
	s_or_b64 exec, exec, s[6:7]
	s_waitcnt vmcnt(12)
	v_lshlrev_b32_e32 v56, 16, v50
	v_mul_f32_e32 v57, v72, v56
	s_mov_b32 s3, 0x7f800000
	v_and_b32_e32 v56, 0x7f800000, v57
	v_cmp_ne_u32_e64 s[4:5], s3, v56
                                        ; implicit-def: $vgpr56
	s_and_saveexec_b64 s[6:7], s[4:5]
	s_xor_b64 s[4:5], exec, s[6:7]
; %bb.99:
	v_bfe_u32 v56, v57, 16, 1
	s_movk_i32 s3, 0x7fff
	v_add3_u32 v56, v57, v56, s3
                                        ; implicit-def: $vgpr57
; %bb.100:
	s_andn2_saveexec_b64 s[6:7], s[4:5]
; %bb.101:
	v_mov_b32_e32 v56, 0
	v_or_b32_e32 v60, 0x10000, v57
	v_cmp_eq_u32_sdwa s[4:5], v57, v56 src0_sel:WORD_0 src1_sel:DWORD
	s_nop 1
	v_cndmask_b32_e64 v56, v60, v57, s[4:5]
; %bb.102:
	s_or_b64 exec, exec, s[6:7]
	v_and_b32_e32 v50, 0xffff0000, v50
	v_mul_f32_e32 v57, v71, v50
	s_mov_b32 s3, 0x7f800000
	v_and_b32_e32 v50, 0x7f800000, v57
	v_cmp_ne_u32_e64 s[4:5], s3, v50
                                        ; implicit-def: $vgpr50
	s_and_saveexec_b64 s[6:7], s[4:5]
	s_xor_b64 s[4:5], exec, s[6:7]
; %bb.103:
	v_bfe_u32 v50, v57, 16, 1
	s_movk_i32 s3, 0x7fff
	v_add3_u32 v50, v57, v50, s3
                                        ; implicit-def: $vgpr57
; %bb.104:
	s_andn2_saveexec_b64 s[6:7], s[4:5]
; %bb.105:
	v_mov_b32_e32 v50, 0
	v_or_b32_e32 v60, 0x10000, v57
	v_cmp_eq_u32_sdwa s[4:5], v57, v50 src0_sel:WORD_0 src1_sel:DWORD
	s_nop 1
	v_cndmask_b32_e64 v50, v60, v57, s[4:5]
; %bb.106:
	s_or_b64 exec, exec, s[6:7]
	v_and_b32_e32 v57, 0xffff0000, v56
	v_lshlrev_b32_e32 v56, 16, v51
	v_fmac_f32_e32 v57, v56, v70
	s_mov_b32 s3, 0x7f800000
	v_and_b32_e32 v56, 0x7f800000, v57
	v_cmp_ne_u32_e64 s[4:5], s3, v56
                                        ; implicit-def: $vgpr56
	s_and_saveexec_b64 s[6:7], s[4:5]
	s_xor_b64 s[4:5], exec, s[6:7]
; %bb.107:
	v_bfe_u32 v56, v57, 16, 1
	s_movk_i32 s3, 0x7fff
	v_add3_u32 v56, v57, v56, s3
                                        ; implicit-def: $vgpr57
; %bb.108:
	s_andn2_saveexec_b64 s[6:7], s[4:5]
; %bb.109:
	v_mov_b32_e32 v56, 0
	v_or_b32_e32 v60, 0x10000, v57
	v_cmp_eq_u32_sdwa s[4:5], v57, v56 src0_sel:WORD_0 src1_sel:DWORD
	s_nop 1
	v_cndmask_b32_e64 v56, v60, v57, s[4:5]
; %bb.110:
	s_or_b64 exec, exec, s[6:7]
	v_and_b32_e32 v57, 0xffff0000, v50
	v_and_b32_e32 v50, 0xffff0000, v51
	v_fmac_f32_e32 v57, v50, v69
	s_mov_b32 s3, 0x7f800000
	v_and_b32_e32 v50, 0x7f800000, v57
	v_cmp_ne_u32_e64 s[4:5], s3, v50
                                        ; implicit-def: $vgpr50
	s_and_saveexec_b64 s[6:7], s[4:5]
	s_xor_b64 s[4:5], exec, s[6:7]
; %bb.111:
	v_bfe_u32 v50, v57, 16, 1
	s_movk_i32 s3, 0x7fff
	v_add3_u32 v50, v57, v50, s3
                                        ; implicit-def: $vgpr57
; %bb.112:
	s_andn2_saveexec_b64 s[6:7], s[4:5]
; %bb.113:
	v_mov_b32_e32 v50, 0
	v_or_b32_e32 v51, 0x10000, v57
	v_cmp_eq_u32_sdwa s[4:5], v57, v50 src0_sel:WORD_0 src1_sel:DWORD
	s_nop 1
	v_cndmask_b32_e64 v50, v51, v57, s[4:5]
; %bb.114:
	s_or_b64 exec, exec, s[6:7]
	v_and_b32_e32 v56, 0xffff0000, v56
	v_lshlrev_b32_e32 v51, 16, v52
	v_fmac_f32_e32 v56, v51, v68
	s_mov_b32 s3, 0x7f800000
	v_and_b32_e32 v51, 0x7f800000, v56
	v_cmp_ne_u32_e64 s[4:5], s3, v51
                                        ; implicit-def: $vgpr51
	s_and_saveexec_b64 s[6:7], s[4:5]
	s_xor_b64 s[4:5], exec, s[6:7]
; %bb.115:
	v_bfe_u32 v51, v56, 16, 1
	s_movk_i32 s3, 0x7fff
	v_add3_u32 v51, v56, v51, s3
                                        ; implicit-def: $vgpr56
; %bb.116:
	s_andn2_saveexec_b64 s[6:7], s[4:5]
; %bb.117:
	v_mov_b32_e32 v51, 0
	v_or_b32_e32 v57, 0x10000, v56
	v_cmp_eq_u32_sdwa s[4:5], v56, v51 src0_sel:WORD_0 src1_sel:DWORD
	s_nop 1
	v_cndmask_b32_e64 v51, v57, v56, s[4:5]
; %bb.118:
	s_or_b64 exec, exec, s[6:7]
	v_and_b32_e32 v50, 0xffff0000, v50
	v_and_b32_e32 v52, 0xffff0000, v52
	v_fmac_f32_e32 v50, v52, v67
	s_mov_b32 s3, 0x7f800000
	v_and_b32_e32 v52, 0x7f800000, v50
	v_cmp_ne_u32_e64 s[4:5], s3, v52
                                        ; implicit-def: $vgpr52
	s_and_saveexec_b64 s[6:7], s[4:5]
	s_xor_b64 s[4:5], exec, s[6:7]
; %bb.119:
	v_bfe_u32 v52, v50, 16, 1
	s_movk_i32 s3, 0x7fff
	v_add3_u32 v52, v50, v52, s3
                                        ; implicit-def: $vgpr50
; %bb.120:
	s_andn2_saveexec_b64 s[6:7], s[4:5]
; %bb.121:
	v_mov_b32_e32 v52, 0
	v_or_b32_e32 v56, 0x10000, v50
	v_cmp_eq_u32_sdwa s[4:5], v50, v52 src0_sel:WORD_0 src1_sel:DWORD
	s_nop 1
	v_cndmask_b32_e64 v52, v56, v50, s[4:5]
; %bb.122:
	s_or_b64 exec, exec, s[6:7]
	v_and_b32_e32 v51, 0xffff0000, v51
	v_lshlrev_b32_e32 v50, 16, v53
	v_fmac_f32_e32 v51, v50, v1
	s_mov_b32 s3, 0x7f800000
	v_and_b32_e32 v50, 0x7f800000, v51
	v_cmp_ne_u32_e64 s[4:5], s3, v50
                                        ; implicit-def: $vgpr50
	s_and_saveexec_b64 s[6:7], s[4:5]
	s_xor_b64 s[4:5], exec, s[6:7]
; %bb.123:
	v_bfe_u32 v50, v51, 16, 1
	s_movk_i32 s3, 0x7fff
	v_add3_u32 v50, v51, v50, s3
                                        ; implicit-def: $vgpr51
; %bb.124:
	s_andn2_saveexec_b64 s[6:7], s[4:5]
; %bb.125:
	v_mov_b32_e32 v50, 0
	v_or_b32_e32 v56, 0x10000, v51
	v_cmp_eq_u32_sdwa s[4:5], v51, v50 src0_sel:WORD_0 src1_sel:DWORD
	s_nop 1
	v_cndmask_b32_e64 v50, v56, v51, s[4:5]
; %bb.126:
	s_or_b64 exec, exec, s[6:7]
	v_and_b32_e32 v52, 0xffff0000, v52
	v_and_b32_e32 v51, 0xffff0000, v53
	v_fmac_f32_e32 v52, v51, v66
	s_mov_b32 s3, 0x7f800000
	v_and_b32_e32 v51, 0x7f800000, v52
	v_cmp_ne_u32_e64 s[4:5], s3, v51
                                        ; implicit-def: $vgpr51
	s_and_saveexec_b64 s[6:7], s[4:5]
	s_xor_b64 s[4:5], exec, s[6:7]
; %bb.127:
	v_bfe_u32 v51, v52, 16, 1
	s_movk_i32 s3, 0x7fff
	v_add3_u32 v51, v52, v51, s3
                                        ; implicit-def: $vgpr52
; %bb.128:
	s_andn2_saveexec_b64 s[6:7], s[4:5]
; %bb.129:
	v_mov_b32_e32 v51, 0
	v_or_b32_e32 v53, 0x10000, v52
	v_cmp_eq_u32_sdwa s[4:5], v52, v51 src0_sel:WORD_0 src1_sel:DWORD
	s_nop 1
	v_cndmask_b32_e64 v51, v53, v52, s[4:5]
; %bb.130:
	s_or_b64 exec, exec, s[6:7]
	s_waitcnt vmcnt(11)
	v_lshlrev_b32_e32 v52, 16, v46
	v_mul_f32_e32 v53, v72, v52
	s_mov_b32 s3, 0x7f800000
	v_and_b32_e32 v52, 0x7f800000, v53
	v_cmp_ne_u32_e64 s[4:5], s3, v52
                                        ; implicit-def: $vgpr52
	s_and_saveexec_b64 s[6:7], s[4:5]
	s_xor_b64 s[4:5], exec, s[6:7]
; %bb.131:
	v_bfe_u32 v52, v53, 16, 1
	s_movk_i32 s3, 0x7fff
	v_add3_u32 v52, v53, v52, s3
                                        ; implicit-def: $vgpr53
; %bb.132:
	s_andn2_saveexec_b64 s[6:7], s[4:5]
; %bb.133:
	v_mov_b32_e32 v52, 0
	v_or_b32_e32 v56, 0x10000, v53
	v_cmp_eq_u32_sdwa s[4:5], v53, v52 src0_sel:WORD_0 src1_sel:DWORD
	s_nop 1
	v_cndmask_b32_e64 v52, v56, v53, s[4:5]
; %bb.134:
	s_or_b64 exec, exec, s[6:7]
	v_and_b32_e32 v46, 0xffff0000, v46
	v_mul_f32_e32 v53, v71, v46
	s_mov_b32 s3, 0x7f800000
	v_and_b32_e32 v46, 0x7f800000, v53
	v_cmp_ne_u32_e64 s[4:5], s3, v46
                                        ; implicit-def: $vgpr46
	s_and_saveexec_b64 s[6:7], s[4:5]
	s_xor_b64 s[4:5], exec, s[6:7]
; %bb.135:
	v_bfe_u32 v46, v53, 16, 1
	s_movk_i32 s3, 0x7fff
	v_add3_u32 v46, v53, v46, s3
                                        ; implicit-def: $vgpr53
; %bb.136:
	s_andn2_saveexec_b64 s[6:7], s[4:5]
; %bb.137:
	v_mov_b32_e32 v46, 0
	v_or_b32_e32 v56, 0x10000, v53
	v_cmp_eq_u32_sdwa s[4:5], v53, v46 src0_sel:WORD_0 src1_sel:DWORD
	s_nop 1
	v_cndmask_b32_e64 v46, v56, v53, s[4:5]
; %bb.138:
	s_or_b64 exec, exec, s[6:7]
	v_and_b32_e32 v53, 0xffff0000, v52
	v_lshlrev_b32_e32 v52, 16, v47
	v_fmac_f32_e32 v53, v52, v70
	s_mov_b32 s3, 0x7f800000
	v_and_b32_e32 v52, 0x7f800000, v53
	v_cmp_ne_u32_e64 s[4:5], s3, v52
                                        ; implicit-def: $vgpr52
	s_and_saveexec_b64 s[6:7], s[4:5]
	s_xor_b64 s[4:5], exec, s[6:7]
; %bb.139:
	v_bfe_u32 v52, v53, 16, 1
	s_movk_i32 s3, 0x7fff
	v_add3_u32 v52, v53, v52, s3
                                        ; implicit-def: $vgpr53
; %bb.140:
	s_andn2_saveexec_b64 s[6:7], s[4:5]
; %bb.141:
	v_mov_b32_e32 v52, 0
	v_or_b32_e32 v56, 0x10000, v53
	v_cmp_eq_u32_sdwa s[4:5], v53, v52 src0_sel:WORD_0 src1_sel:DWORD
	s_nop 1
	v_cndmask_b32_e64 v52, v56, v53, s[4:5]
; %bb.142:
	s_or_b64 exec, exec, s[6:7]
	v_and_b32_e32 v53, 0xffff0000, v46
	v_and_b32_e32 v46, 0xffff0000, v47
	v_fmac_f32_e32 v53, v46, v69
	s_mov_b32 s3, 0x7f800000
	v_and_b32_e32 v46, 0x7f800000, v53
	v_cmp_ne_u32_e64 s[4:5], s3, v46
                                        ; implicit-def: $vgpr46
	s_and_saveexec_b64 s[6:7], s[4:5]
	s_xor_b64 s[4:5], exec, s[6:7]
; %bb.143:
	v_bfe_u32 v46, v53, 16, 1
	s_movk_i32 s3, 0x7fff
	v_add3_u32 v46, v53, v46, s3
                                        ; implicit-def: $vgpr53
; %bb.144:
	s_andn2_saveexec_b64 s[6:7], s[4:5]
; %bb.145:
	v_mov_b32_e32 v46, 0
	v_or_b32_e32 v47, 0x10000, v53
	v_cmp_eq_u32_sdwa s[4:5], v53, v46 src0_sel:WORD_0 src1_sel:DWORD
	s_nop 1
	v_cndmask_b32_e64 v46, v47, v53, s[4:5]
; %bb.146:
	s_or_b64 exec, exec, s[6:7]
	v_and_b32_e32 v52, 0xffff0000, v52
	v_lshlrev_b32_e32 v47, 16, v48
	v_fmac_f32_e32 v52, v47, v68
	s_mov_b32 s3, 0x7f800000
	v_and_b32_e32 v47, 0x7f800000, v52
	v_cmp_ne_u32_e64 s[4:5], s3, v47
                                        ; implicit-def: $vgpr47
	s_and_saveexec_b64 s[6:7], s[4:5]
	s_xor_b64 s[4:5], exec, s[6:7]
; %bb.147:
	v_bfe_u32 v47, v52, 16, 1
	s_movk_i32 s3, 0x7fff
	v_add3_u32 v47, v52, v47, s3
                                        ; implicit-def: $vgpr52
; %bb.148:
	s_andn2_saveexec_b64 s[6:7], s[4:5]
; %bb.149:
	v_mov_b32_e32 v47, 0
	v_or_b32_e32 v53, 0x10000, v52
	v_cmp_eq_u32_sdwa s[4:5], v52, v47 src0_sel:WORD_0 src1_sel:DWORD
	s_nop 1
	v_cndmask_b32_e64 v47, v53, v52, s[4:5]
; %bb.150:
	s_or_b64 exec, exec, s[6:7]
	v_and_b32_e32 v46, 0xffff0000, v46
	v_and_b32_e32 v48, 0xffff0000, v48
	v_fmac_f32_e32 v46, v48, v67
	s_mov_b32 s3, 0x7f800000
	v_and_b32_e32 v48, 0x7f800000, v46
	v_cmp_ne_u32_e64 s[4:5], s3, v48
                                        ; implicit-def: $vgpr48
	s_and_saveexec_b64 s[6:7], s[4:5]
	s_xor_b64 s[4:5], exec, s[6:7]
; %bb.151:
	v_bfe_u32 v48, v46, 16, 1
	s_movk_i32 s3, 0x7fff
	v_add3_u32 v48, v46, v48, s3
                                        ; implicit-def: $vgpr46
; %bb.152:
	s_andn2_saveexec_b64 s[6:7], s[4:5]
; %bb.153:
	v_mov_b32_e32 v48, 0
	v_or_b32_e32 v52, 0x10000, v46
	v_cmp_eq_u32_sdwa s[4:5], v46, v48 src0_sel:WORD_0 src1_sel:DWORD
	s_nop 1
	v_cndmask_b32_e64 v48, v52, v46, s[4:5]
; %bb.154:
	s_or_b64 exec, exec, s[6:7]
	v_and_b32_e32 v47, 0xffff0000, v47
	v_lshlrev_b32_e32 v46, 16, v49
	v_fmac_f32_e32 v47, v46, v1
	s_mov_b32 s3, 0x7f800000
	v_and_b32_e32 v46, 0x7f800000, v47
	v_cmp_ne_u32_e64 s[4:5], s3, v46
                                        ; implicit-def: $vgpr46
	s_and_saveexec_b64 s[6:7], s[4:5]
	s_xor_b64 s[4:5], exec, s[6:7]
; %bb.155:
	v_bfe_u32 v46, v47, 16, 1
	s_movk_i32 s3, 0x7fff
	v_add3_u32 v46, v47, v46, s3
                                        ; implicit-def: $vgpr47
; %bb.156:
	s_andn2_saveexec_b64 s[6:7], s[4:5]
; %bb.157:
	v_mov_b32_e32 v46, 0
	v_or_b32_e32 v52, 0x10000, v47
	v_cmp_eq_u32_sdwa s[4:5], v47, v46 src0_sel:WORD_0 src1_sel:DWORD
	s_nop 1
	v_cndmask_b32_e64 v46, v52, v47, s[4:5]
; %bb.158:
	s_or_b64 exec, exec, s[6:7]
	v_and_b32_e32 v48, 0xffff0000, v48
	v_and_b32_e32 v47, 0xffff0000, v49
	v_fmac_f32_e32 v48, v47, v66
	s_mov_b32 s3, 0x7f800000
	v_and_b32_e32 v47, 0x7f800000, v48
	v_cmp_ne_u32_e64 s[4:5], s3, v47
                                        ; implicit-def: $vgpr47
	s_and_saveexec_b64 s[6:7], s[4:5]
	s_xor_b64 s[4:5], exec, s[6:7]
; %bb.159:
	v_bfe_u32 v47, v48, 16, 1
	s_movk_i32 s3, 0x7fff
	v_add3_u32 v47, v48, v47, s3
                                        ; implicit-def: $vgpr48
; %bb.160:
	s_andn2_saveexec_b64 s[6:7], s[4:5]
; %bb.161:
	v_mov_b32_e32 v47, 0
	v_or_b32_e32 v49, 0x10000, v48
	v_cmp_eq_u32_sdwa s[4:5], v48, v47 src0_sel:WORD_0 src1_sel:DWORD
	s_nop 1
	v_cndmask_b32_e64 v47, v49, v48, s[4:5]
; %bb.162:
	s_or_b64 exec, exec, s[6:7]
	s_waitcnt vmcnt(10)
	v_lshlrev_b32_e32 v48, 16, v42
	v_mul_f32_e32 v49, v72, v48
	s_mov_b32 s3, 0x7f800000
	v_and_b32_e32 v48, 0x7f800000, v49
	v_cmp_ne_u32_e64 s[4:5], s3, v48
                                        ; implicit-def: $vgpr48
	s_and_saveexec_b64 s[6:7], s[4:5]
	s_xor_b64 s[4:5], exec, s[6:7]
; %bb.163:
	v_bfe_u32 v48, v49, 16, 1
	s_movk_i32 s3, 0x7fff
	v_add3_u32 v48, v49, v48, s3
                                        ; implicit-def: $vgpr49
; %bb.164:
	s_andn2_saveexec_b64 s[6:7], s[4:5]
; %bb.165:
	v_mov_b32_e32 v48, 0
	v_or_b32_e32 v52, 0x10000, v49
	v_cmp_eq_u32_sdwa s[4:5], v49, v48 src0_sel:WORD_0 src1_sel:DWORD
	s_nop 1
	v_cndmask_b32_e64 v48, v52, v49, s[4:5]
; %bb.166:
	s_or_b64 exec, exec, s[6:7]
	v_and_b32_e32 v42, 0xffff0000, v42
	v_mul_f32_e32 v49, v71, v42
	s_mov_b32 s3, 0x7f800000
	v_and_b32_e32 v42, 0x7f800000, v49
	v_cmp_ne_u32_e64 s[4:5], s3, v42
                                        ; implicit-def: $vgpr42
	s_and_saveexec_b64 s[6:7], s[4:5]
	s_xor_b64 s[4:5], exec, s[6:7]
; %bb.167:
	v_bfe_u32 v42, v49, 16, 1
	s_movk_i32 s3, 0x7fff
	v_add3_u32 v42, v49, v42, s3
                                        ; implicit-def: $vgpr49
; %bb.168:
	s_andn2_saveexec_b64 s[6:7], s[4:5]
; %bb.169:
	v_mov_b32_e32 v42, 0
	v_or_b32_e32 v52, 0x10000, v49
	v_cmp_eq_u32_sdwa s[4:5], v49, v42 src0_sel:WORD_0 src1_sel:DWORD
	s_nop 1
	v_cndmask_b32_e64 v42, v52, v49, s[4:5]
; %bb.170:
	s_or_b64 exec, exec, s[6:7]
	v_and_b32_e32 v49, 0xffff0000, v48
	v_lshlrev_b32_e32 v48, 16, v43
	v_fmac_f32_e32 v49, v48, v70
	s_mov_b32 s3, 0x7f800000
	v_and_b32_e32 v48, 0x7f800000, v49
	v_cmp_ne_u32_e64 s[4:5], s3, v48
                                        ; implicit-def: $vgpr48
	s_and_saveexec_b64 s[6:7], s[4:5]
	s_xor_b64 s[4:5], exec, s[6:7]
; %bb.171:
	v_bfe_u32 v48, v49, 16, 1
	s_movk_i32 s3, 0x7fff
	v_add3_u32 v48, v49, v48, s3
                                        ; implicit-def: $vgpr49
; %bb.172:
	s_andn2_saveexec_b64 s[6:7], s[4:5]
; %bb.173:
	v_mov_b32_e32 v48, 0
	v_or_b32_e32 v52, 0x10000, v49
	v_cmp_eq_u32_sdwa s[4:5], v49, v48 src0_sel:WORD_0 src1_sel:DWORD
	s_nop 1
	v_cndmask_b32_e64 v48, v52, v49, s[4:5]
; %bb.174:
	s_or_b64 exec, exec, s[6:7]
	v_and_b32_e32 v49, 0xffff0000, v42
	v_and_b32_e32 v42, 0xffff0000, v43
	v_fmac_f32_e32 v49, v42, v69
	s_mov_b32 s3, 0x7f800000
	v_and_b32_e32 v42, 0x7f800000, v49
	v_cmp_ne_u32_e64 s[4:5], s3, v42
                                        ; implicit-def: $vgpr42
	s_and_saveexec_b64 s[6:7], s[4:5]
	s_xor_b64 s[4:5], exec, s[6:7]
; %bb.175:
	v_bfe_u32 v42, v49, 16, 1
	s_movk_i32 s3, 0x7fff
	v_add3_u32 v42, v49, v42, s3
                                        ; implicit-def: $vgpr49
; %bb.176:
	s_andn2_saveexec_b64 s[6:7], s[4:5]
; %bb.177:
	v_mov_b32_e32 v42, 0
	v_or_b32_e32 v43, 0x10000, v49
	v_cmp_eq_u32_sdwa s[4:5], v49, v42 src0_sel:WORD_0 src1_sel:DWORD
	s_nop 1
	v_cndmask_b32_e64 v42, v43, v49, s[4:5]
; %bb.178:
	s_or_b64 exec, exec, s[6:7]
	v_and_b32_e32 v48, 0xffff0000, v48
	v_lshlrev_b32_e32 v43, 16, v44
	v_fmac_f32_e32 v48, v43, v68
	s_mov_b32 s3, 0x7f800000
	v_and_b32_e32 v43, 0x7f800000, v48
	v_cmp_ne_u32_e64 s[4:5], s3, v43
                                        ; implicit-def: $vgpr43
	s_and_saveexec_b64 s[6:7], s[4:5]
	s_xor_b64 s[4:5], exec, s[6:7]
; %bb.179:
	v_bfe_u32 v43, v48, 16, 1
	s_movk_i32 s3, 0x7fff
	v_add3_u32 v43, v48, v43, s3
                                        ; implicit-def: $vgpr48
; %bb.180:
	s_andn2_saveexec_b64 s[6:7], s[4:5]
; %bb.181:
	v_mov_b32_e32 v43, 0
	v_or_b32_e32 v49, 0x10000, v48
	v_cmp_eq_u32_sdwa s[4:5], v48, v43 src0_sel:WORD_0 src1_sel:DWORD
	s_nop 1
	v_cndmask_b32_e64 v43, v49, v48, s[4:5]
; %bb.182:
	s_or_b64 exec, exec, s[6:7]
	v_and_b32_e32 v42, 0xffff0000, v42
	v_and_b32_e32 v44, 0xffff0000, v44
	v_fmac_f32_e32 v42, v44, v67
	s_mov_b32 s3, 0x7f800000
	v_and_b32_e32 v44, 0x7f800000, v42
	v_cmp_ne_u32_e64 s[4:5], s3, v44
                                        ; implicit-def: $vgpr44
	s_and_saveexec_b64 s[6:7], s[4:5]
	s_xor_b64 s[4:5], exec, s[6:7]
; %bb.183:
	v_bfe_u32 v44, v42, 16, 1
	s_movk_i32 s3, 0x7fff
	v_add3_u32 v44, v42, v44, s3
                                        ; implicit-def: $vgpr42
; %bb.184:
	s_andn2_saveexec_b64 s[6:7], s[4:5]
; %bb.185:
	v_mov_b32_e32 v44, 0
	v_or_b32_e32 v48, 0x10000, v42
	v_cmp_eq_u32_sdwa s[4:5], v42, v44 src0_sel:WORD_0 src1_sel:DWORD
	s_nop 1
	v_cndmask_b32_e64 v44, v48, v42, s[4:5]
; %bb.186:
	s_or_b64 exec, exec, s[6:7]
	v_and_b32_e32 v43, 0xffff0000, v43
	v_lshlrev_b32_e32 v42, 16, v45
	v_fmac_f32_e32 v43, v42, v1
	s_mov_b32 s3, 0x7f800000
	v_and_b32_e32 v42, 0x7f800000, v43
	v_cmp_ne_u32_e64 s[4:5], s3, v42
                                        ; implicit-def: $vgpr42
	s_and_saveexec_b64 s[6:7], s[4:5]
	s_xor_b64 s[4:5], exec, s[6:7]
; %bb.187:
	v_bfe_u32 v42, v43, 16, 1
	s_movk_i32 s3, 0x7fff
	v_add3_u32 v42, v43, v42, s3
                                        ; implicit-def: $vgpr43
; %bb.188:
	s_andn2_saveexec_b64 s[6:7], s[4:5]
; %bb.189:
	v_mov_b32_e32 v42, 0
	v_or_b32_e32 v48, 0x10000, v43
	v_cmp_eq_u32_sdwa s[4:5], v43, v42 src0_sel:WORD_0 src1_sel:DWORD
	s_nop 1
	v_cndmask_b32_e64 v42, v48, v43, s[4:5]
; %bb.190:
	s_or_b64 exec, exec, s[6:7]
	v_and_b32_e32 v44, 0xffff0000, v44
	v_and_b32_e32 v43, 0xffff0000, v45
	v_fmac_f32_e32 v44, v43, v66
	s_mov_b32 s3, 0x7f800000
	v_and_b32_e32 v43, 0x7f800000, v44
	v_cmp_ne_u32_e64 s[4:5], s3, v43
                                        ; implicit-def: $vgpr43
	s_and_saveexec_b64 s[6:7], s[4:5]
	s_xor_b64 s[4:5], exec, s[6:7]
; %bb.191:
	v_bfe_u32 v43, v44, 16, 1
	s_movk_i32 s3, 0x7fff
	v_add3_u32 v43, v44, v43, s3
                                        ; implicit-def: $vgpr44
; %bb.192:
	s_andn2_saveexec_b64 s[6:7], s[4:5]
; %bb.193:
	v_mov_b32_e32 v43, 0
	v_or_b32_e32 v45, 0x10000, v44
	v_cmp_eq_u32_sdwa s[4:5], v44, v43 src0_sel:WORD_0 src1_sel:DWORD
	s_nop 1
	v_cndmask_b32_e64 v43, v45, v44, s[4:5]
; %bb.194:
	s_or_b64 exec, exec, s[6:7]
	s_waitcnt vmcnt(9)
	v_lshlrev_b32_e32 v44, 16, v38
	v_mul_f32_e32 v45, v72, v44
	s_mov_b32 s3, 0x7f800000
	v_and_b32_e32 v44, 0x7f800000, v45
	v_cmp_ne_u32_e64 s[4:5], s3, v44
                                        ; implicit-def: $vgpr44
	s_and_saveexec_b64 s[6:7], s[4:5]
	s_xor_b64 s[4:5], exec, s[6:7]
; %bb.195:
	v_bfe_u32 v44, v45, 16, 1
	s_movk_i32 s3, 0x7fff
	v_add3_u32 v44, v45, v44, s3
                                        ; implicit-def: $vgpr45
; %bb.196:
	s_andn2_saveexec_b64 s[6:7], s[4:5]
; %bb.197:
	v_mov_b32_e32 v44, 0
	v_or_b32_e32 v48, 0x10000, v45
	v_cmp_eq_u32_sdwa s[4:5], v45, v44 src0_sel:WORD_0 src1_sel:DWORD
	s_nop 1
	v_cndmask_b32_e64 v44, v48, v45, s[4:5]
; %bb.198:
	s_or_b64 exec, exec, s[6:7]
	v_and_b32_e32 v38, 0xffff0000, v38
	v_mul_f32_e32 v45, v71, v38
	s_mov_b32 s3, 0x7f800000
	v_and_b32_e32 v38, 0x7f800000, v45
	v_cmp_ne_u32_e64 s[4:5], s3, v38
                                        ; implicit-def: $vgpr38
	s_and_saveexec_b64 s[6:7], s[4:5]
	s_xor_b64 s[4:5], exec, s[6:7]
; %bb.199:
	v_bfe_u32 v38, v45, 16, 1
	s_movk_i32 s3, 0x7fff
	v_add3_u32 v38, v45, v38, s3
                                        ; implicit-def: $vgpr45
; %bb.200:
	s_andn2_saveexec_b64 s[6:7], s[4:5]
; %bb.201:
	v_mov_b32_e32 v38, 0
	v_or_b32_e32 v48, 0x10000, v45
	v_cmp_eq_u32_sdwa s[4:5], v45, v38 src0_sel:WORD_0 src1_sel:DWORD
	s_nop 1
	v_cndmask_b32_e64 v38, v48, v45, s[4:5]
; %bb.202:
	s_or_b64 exec, exec, s[6:7]
	v_and_b32_e32 v45, 0xffff0000, v44
	v_lshlrev_b32_e32 v44, 16, v39
	v_fmac_f32_e32 v45, v44, v70
	s_mov_b32 s3, 0x7f800000
	v_and_b32_e32 v44, 0x7f800000, v45
	v_cmp_ne_u32_e64 s[4:5], s3, v44
                                        ; implicit-def: $vgpr44
	s_and_saveexec_b64 s[6:7], s[4:5]
	s_xor_b64 s[4:5], exec, s[6:7]
; %bb.203:
	v_bfe_u32 v44, v45, 16, 1
	s_movk_i32 s3, 0x7fff
	v_add3_u32 v44, v45, v44, s3
                                        ; implicit-def: $vgpr45
; %bb.204:
	s_andn2_saveexec_b64 s[6:7], s[4:5]
; %bb.205:
	v_mov_b32_e32 v44, 0
	v_or_b32_e32 v48, 0x10000, v45
	v_cmp_eq_u32_sdwa s[4:5], v45, v44 src0_sel:WORD_0 src1_sel:DWORD
	s_nop 1
	v_cndmask_b32_e64 v44, v48, v45, s[4:5]
; %bb.206:
	s_or_b64 exec, exec, s[6:7]
	v_and_b32_e32 v45, 0xffff0000, v38
	v_and_b32_e32 v38, 0xffff0000, v39
	v_fmac_f32_e32 v45, v38, v69
	s_mov_b32 s3, 0x7f800000
	v_and_b32_e32 v38, 0x7f800000, v45
	v_cmp_ne_u32_e64 s[4:5], s3, v38
                                        ; implicit-def: $vgpr38
	s_and_saveexec_b64 s[6:7], s[4:5]
	s_xor_b64 s[4:5], exec, s[6:7]
; %bb.207:
	v_bfe_u32 v38, v45, 16, 1
	s_movk_i32 s3, 0x7fff
	v_add3_u32 v38, v45, v38, s3
                                        ; implicit-def: $vgpr45
; %bb.208:
	s_andn2_saveexec_b64 s[6:7], s[4:5]
; %bb.209:
	v_mov_b32_e32 v38, 0
	v_or_b32_e32 v39, 0x10000, v45
	v_cmp_eq_u32_sdwa s[4:5], v45, v38 src0_sel:WORD_0 src1_sel:DWORD
	s_nop 1
	v_cndmask_b32_e64 v38, v39, v45, s[4:5]
; %bb.210:
	s_or_b64 exec, exec, s[6:7]
	v_and_b32_e32 v44, 0xffff0000, v44
	v_lshlrev_b32_e32 v39, 16, v40
	v_fmac_f32_e32 v44, v39, v68
	s_mov_b32 s3, 0x7f800000
	v_and_b32_e32 v39, 0x7f800000, v44
	v_cmp_ne_u32_e64 s[4:5], s3, v39
                                        ; implicit-def: $vgpr39
	s_and_saveexec_b64 s[6:7], s[4:5]
	s_xor_b64 s[4:5], exec, s[6:7]
; %bb.211:
	v_bfe_u32 v39, v44, 16, 1
	s_movk_i32 s3, 0x7fff
	v_add3_u32 v39, v44, v39, s3
                                        ; implicit-def: $vgpr44
; %bb.212:
	s_andn2_saveexec_b64 s[6:7], s[4:5]
; %bb.213:
	v_mov_b32_e32 v39, 0
	v_or_b32_e32 v45, 0x10000, v44
	v_cmp_eq_u32_sdwa s[4:5], v44, v39 src0_sel:WORD_0 src1_sel:DWORD
	s_nop 1
	v_cndmask_b32_e64 v39, v45, v44, s[4:5]
; %bb.214:
	s_or_b64 exec, exec, s[6:7]
	v_and_b32_e32 v38, 0xffff0000, v38
	v_and_b32_e32 v40, 0xffff0000, v40
	v_fmac_f32_e32 v38, v40, v67
	s_mov_b32 s3, 0x7f800000
	v_and_b32_e32 v40, 0x7f800000, v38
	v_cmp_ne_u32_e64 s[4:5], s3, v40
                                        ; implicit-def: $vgpr40
	s_and_saveexec_b64 s[6:7], s[4:5]
	s_xor_b64 s[4:5], exec, s[6:7]
; %bb.215:
	v_bfe_u32 v40, v38, 16, 1
	s_movk_i32 s3, 0x7fff
	v_add3_u32 v40, v38, v40, s3
                                        ; implicit-def: $vgpr38
; %bb.216:
	s_andn2_saveexec_b64 s[6:7], s[4:5]
; %bb.217:
	v_mov_b32_e32 v40, 0
	v_or_b32_e32 v44, 0x10000, v38
	v_cmp_eq_u32_sdwa s[4:5], v38, v40 src0_sel:WORD_0 src1_sel:DWORD
	s_nop 1
	v_cndmask_b32_e64 v40, v44, v38, s[4:5]
; %bb.218:
	s_or_b64 exec, exec, s[6:7]
	v_and_b32_e32 v39, 0xffff0000, v39
	v_lshlrev_b32_e32 v38, 16, v41
	v_fmac_f32_e32 v39, v38, v1
	s_mov_b32 s3, 0x7f800000
	v_and_b32_e32 v38, 0x7f800000, v39
	v_cmp_ne_u32_e64 s[4:5], s3, v38
                                        ; implicit-def: $vgpr38
	s_and_saveexec_b64 s[6:7], s[4:5]
	s_xor_b64 s[4:5], exec, s[6:7]
; %bb.219:
	v_bfe_u32 v38, v39, 16, 1
	s_movk_i32 s3, 0x7fff
	v_add3_u32 v38, v39, v38, s3
                                        ; implicit-def: $vgpr39
; %bb.220:
	s_andn2_saveexec_b64 s[6:7], s[4:5]
; %bb.221:
	v_mov_b32_e32 v38, 0
	v_or_b32_e32 v44, 0x10000, v39
	v_cmp_eq_u32_sdwa s[4:5], v39, v38 src0_sel:WORD_0 src1_sel:DWORD
	s_nop 1
	v_cndmask_b32_e64 v38, v44, v39, s[4:5]
; %bb.222:
	s_or_b64 exec, exec, s[6:7]
	v_and_b32_e32 v40, 0xffff0000, v40
	v_and_b32_e32 v39, 0xffff0000, v41
	v_fmac_f32_e32 v40, v39, v66
	s_mov_b32 s3, 0x7f800000
	v_and_b32_e32 v39, 0x7f800000, v40
	v_cmp_ne_u32_e64 s[4:5], s3, v39
                                        ; implicit-def: $vgpr39
	s_and_saveexec_b64 s[6:7], s[4:5]
	s_xor_b64 s[4:5], exec, s[6:7]
; %bb.223:
	v_bfe_u32 v39, v40, 16, 1
	s_movk_i32 s3, 0x7fff
	v_add3_u32 v39, v40, v39, s3
                                        ; implicit-def: $vgpr40
; %bb.224:
	s_andn2_saveexec_b64 s[6:7], s[4:5]
; %bb.225:
	v_mov_b32_e32 v39, 0
	v_or_b32_e32 v41, 0x10000, v40
	v_cmp_eq_u32_sdwa s[4:5], v40, v39 src0_sel:WORD_0 src1_sel:DWORD
	s_nop 1
	v_cndmask_b32_e64 v39, v41, v40, s[4:5]
; %bb.226:
	s_or_b64 exec, exec, s[6:7]
	s_waitcnt vmcnt(8)
	v_lshlrev_b32_e32 v40, 16, v34
	v_mul_f32_e32 v41, v72, v40
	s_mov_b32 s3, 0x7f800000
	v_and_b32_e32 v40, 0x7f800000, v41
	v_cmp_ne_u32_e64 s[4:5], s3, v40
                                        ; implicit-def: $vgpr40
	s_and_saveexec_b64 s[6:7], s[4:5]
	s_xor_b64 s[4:5], exec, s[6:7]
; %bb.227:
	v_bfe_u32 v40, v41, 16, 1
	s_movk_i32 s3, 0x7fff
	v_add3_u32 v40, v41, v40, s3
                                        ; implicit-def: $vgpr41
; %bb.228:
	s_andn2_saveexec_b64 s[6:7], s[4:5]
; %bb.229:
	v_mov_b32_e32 v40, 0
	v_or_b32_e32 v44, 0x10000, v41
	v_cmp_eq_u32_sdwa s[4:5], v41, v40 src0_sel:WORD_0 src1_sel:DWORD
	s_nop 1
	v_cndmask_b32_e64 v40, v44, v41, s[4:5]
; %bb.230:
	s_or_b64 exec, exec, s[6:7]
	v_and_b32_e32 v34, 0xffff0000, v34
	v_mul_f32_e32 v41, v71, v34
	s_mov_b32 s3, 0x7f800000
	v_and_b32_e32 v34, 0x7f800000, v41
	v_cmp_ne_u32_e64 s[4:5], s3, v34
                                        ; implicit-def: $vgpr34
	s_and_saveexec_b64 s[6:7], s[4:5]
	s_xor_b64 s[4:5], exec, s[6:7]
; %bb.231:
	v_bfe_u32 v34, v41, 16, 1
	s_movk_i32 s3, 0x7fff
	v_add3_u32 v34, v41, v34, s3
                                        ; implicit-def: $vgpr41
; %bb.232:
	s_andn2_saveexec_b64 s[6:7], s[4:5]
; %bb.233:
	v_mov_b32_e32 v34, 0
	v_or_b32_e32 v44, 0x10000, v41
	v_cmp_eq_u32_sdwa s[4:5], v41, v34 src0_sel:WORD_0 src1_sel:DWORD
	s_nop 1
	v_cndmask_b32_e64 v34, v44, v41, s[4:5]
; %bb.234:
	s_or_b64 exec, exec, s[6:7]
	v_and_b32_e32 v41, 0xffff0000, v40
	v_lshlrev_b32_e32 v40, 16, v35
	v_fmac_f32_e32 v41, v40, v70
	s_mov_b32 s3, 0x7f800000
	v_and_b32_e32 v40, 0x7f800000, v41
	v_cmp_ne_u32_e64 s[4:5], s3, v40
                                        ; implicit-def: $vgpr40
	s_and_saveexec_b64 s[6:7], s[4:5]
	s_xor_b64 s[4:5], exec, s[6:7]
; %bb.235:
	v_bfe_u32 v40, v41, 16, 1
	s_movk_i32 s3, 0x7fff
	v_add3_u32 v40, v41, v40, s3
                                        ; implicit-def: $vgpr41
; %bb.236:
	s_andn2_saveexec_b64 s[6:7], s[4:5]
; %bb.237:
	v_mov_b32_e32 v40, 0
	v_or_b32_e32 v44, 0x10000, v41
	v_cmp_eq_u32_sdwa s[4:5], v41, v40 src0_sel:WORD_0 src1_sel:DWORD
	s_nop 1
	v_cndmask_b32_e64 v40, v44, v41, s[4:5]
; %bb.238:
	s_or_b64 exec, exec, s[6:7]
	v_and_b32_e32 v41, 0xffff0000, v34
	v_and_b32_e32 v34, 0xffff0000, v35
	v_fmac_f32_e32 v41, v34, v69
	s_mov_b32 s3, 0x7f800000
	v_and_b32_e32 v34, 0x7f800000, v41
	v_cmp_ne_u32_e64 s[4:5], s3, v34
                                        ; implicit-def: $vgpr34
	s_and_saveexec_b64 s[6:7], s[4:5]
	s_xor_b64 s[4:5], exec, s[6:7]
; %bb.239:
	v_bfe_u32 v34, v41, 16, 1
	s_movk_i32 s3, 0x7fff
	v_add3_u32 v34, v41, v34, s3
                                        ; implicit-def: $vgpr41
; %bb.240:
	s_andn2_saveexec_b64 s[6:7], s[4:5]
; %bb.241:
	v_mov_b32_e32 v34, 0
	v_or_b32_e32 v35, 0x10000, v41
	v_cmp_eq_u32_sdwa s[4:5], v41, v34 src0_sel:WORD_0 src1_sel:DWORD
	s_nop 1
	v_cndmask_b32_e64 v34, v35, v41, s[4:5]
; %bb.242:
	s_or_b64 exec, exec, s[6:7]
	v_and_b32_e32 v40, 0xffff0000, v40
	v_lshlrev_b32_e32 v35, 16, v36
	v_fmac_f32_e32 v40, v35, v68
	s_mov_b32 s3, 0x7f800000
	v_and_b32_e32 v35, 0x7f800000, v40
	v_cmp_ne_u32_e64 s[4:5], s3, v35
                                        ; implicit-def: $vgpr35
	s_and_saveexec_b64 s[6:7], s[4:5]
	s_xor_b64 s[4:5], exec, s[6:7]
; %bb.243:
	v_bfe_u32 v35, v40, 16, 1
	s_movk_i32 s3, 0x7fff
	v_add3_u32 v35, v40, v35, s3
                                        ; implicit-def: $vgpr40
; %bb.244:
	s_andn2_saveexec_b64 s[6:7], s[4:5]
; %bb.245:
	v_mov_b32_e32 v35, 0
	v_or_b32_e32 v41, 0x10000, v40
	v_cmp_eq_u32_sdwa s[4:5], v40, v35 src0_sel:WORD_0 src1_sel:DWORD
	s_nop 1
	v_cndmask_b32_e64 v35, v41, v40, s[4:5]
; %bb.246:
	s_or_b64 exec, exec, s[6:7]
	v_and_b32_e32 v34, 0xffff0000, v34
	v_and_b32_e32 v36, 0xffff0000, v36
	v_fmac_f32_e32 v34, v36, v67
	s_mov_b32 s3, 0x7f800000
	v_and_b32_e32 v36, 0x7f800000, v34
	v_cmp_ne_u32_e64 s[4:5], s3, v36
                                        ; implicit-def: $vgpr36
	s_and_saveexec_b64 s[6:7], s[4:5]
	s_xor_b64 s[4:5], exec, s[6:7]
; %bb.247:
	v_bfe_u32 v36, v34, 16, 1
	s_movk_i32 s3, 0x7fff
	v_add3_u32 v36, v34, v36, s3
                                        ; implicit-def: $vgpr34
; %bb.248:
	s_andn2_saveexec_b64 s[6:7], s[4:5]
; %bb.249:
	v_mov_b32_e32 v36, 0
	v_or_b32_e32 v40, 0x10000, v34
	v_cmp_eq_u32_sdwa s[4:5], v34, v36 src0_sel:WORD_0 src1_sel:DWORD
	s_nop 1
	v_cndmask_b32_e64 v36, v40, v34, s[4:5]
; %bb.250:
	s_or_b64 exec, exec, s[6:7]
	v_and_b32_e32 v35, 0xffff0000, v35
	v_lshlrev_b32_e32 v34, 16, v37
	v_fmac_f32_e32 v35, v34, v1
	s_mov_b32 s3, 0x7f800000
	v_and_b32_e32 v34, 0x7f800000, v35
	v_cmp_ne_u32_e64 s[4:5], s3, v34
                                        ; implicit-def: $vgpr34
	s_and_saveexec_b64 s[6:7], s[4:5]
	s_xor_b64 s[4:5], exec, s[6:7]
; %bb.251:
	v_bfe_u32 v34, v35, 16, 1
	s_movk_i32 s3, 0x7fff
	v_add3_u32 v34, v35, v34, s3
                                        ; implicit-def: $vgpr35
; %bb.252:
	s_andn2_saveexec_b64 s[6:7], s[4:5]
; %bb.253:
	v_mov_b32_e32 v34, 0
	v_or_b32_e32 v40, 0x10000, v35
	v_cmp_eq_u32_sdwa s[4:5], v35, v34 src0_sel:WORD_0 src1_sel:DWORD
	s_nop 1
	v_cndmask_b32_e64 v34, v40, v35, s[4:5]
; %bb.254:
	s_or_b64 exec, exec, s[6:7]
	v_and_b32_e32 v36, 0xffff0000, v36
	v_and_b32_e32 v35, 0xffff0000, v37
	v_fmac_f32_e32 v36, v35, v66
	s_mov_b32 s3, 0x7f800000
	v_and_b32_e32 v35, 0x7f800000, v36
	v_cmp_ne_u32_e64 s[4:5], s3, v35
                                        ; implicit-def: $vgpr35
	s_and_saveexec_b64 s[6:7], s[4:5]
	s_xor_b64 s[4:5], exec, s[6:7]
; %bb.255:
	v_bfe_u32 v35, v36, 16, 1
	s_movk_i32 s3, 0x7fff
	v_add3_u32 v35, v36, v35, s3
                                        ; implicit-def: $vgpr36
; %bb.256:
	s_andn2_saveexec_b64 s[6:7], s[4:5]
; %bb.257:
	v_mov_b32_e32 v35, 0
	v_or_b32_e32 v37, 0x10000, v36
	v_cmp_eq_u32_sdwa s[4:5], v36, v35 src0_sel:WORD_0 src1_sel:DWORD
	s_nop 1
	v_cndmask_b32_e64 v35, v37, v36, s[4:5]
; %bb.258:
	s_or_b64 exec, exec, s[6:7]
	s_waitcnt vmcnt(7)
	v_lshlrev_b32_e32 v36, 16, v30
	v_mul_f32_e32 v37, v72, v36
	s_mov_b32 s3, 0x7f800000
	v_and_b32_e32 v36, 0x7f800000, v37
	v_cmp_ne_u32_e64 s[4:5], s3, v36
                                        ; implicit-def: $vgpr36
	s_and_saveexec_b64 s[6:7], s[4:5]
	s_xor_b64 s[4:5], exec, s[6:7]
; %bb.259:
	v_bfe_u32 v36, v37, 16, 1
	s_movk_i32 s3, 0x7fff
	v_add3_u32 v36, v37, v36, s3
                                        ; implicit-def: $vgpr37
; %bb.260:
	s_andn2_saveexec_b64 s[6:7], s[4:5]
; %bb.261:
	v_mov_b32_e32 v36, 0
	v_or_b32_e32 v40, 0x10000, v37
	v_cmp_eq_u32_sdwa s[4:5], v37, v36 src0_sel:WORD_0 src1_sel:DWORD
	s_nop 1
	v_cndmask_b32_e64 v36, v40, v37, s[4:5]
; %bb.262:
	s_or_b64 exec, exec, s[6:7]
	v_and_b32_e32 v30, 0xffff0000, v30
	v_mul_f32_e32 v37, v71, v30
	s_mov_b32 s3, 0x7f800000
	v_and_b32_e32 v30, 0x7f800000, v37
	v_cmp_ne_u32_e64 s[4:5], s3, v30
                                        ; implicit-def: $vgpr30
	s_and_saveexec_b64 s[6:7], s[4:5]
	s_xor_b64 s[4:5], exec, s[6:7]
; %bb.263:
	v_bfe_u32 v30, v37, 16, 1
	s_movk_i32 s3, 0x7fff
	v_add3_u32 v30, v37, v30, s3
                                        ; implicit-def: $vgpr37
; %bb.264:
	s_andn2_saveexec_b64 s[6:7], s[4:5]
; %bb.265:
	v_mov_b32_e32 v30, 0
	v_or_b32_e32 v40, 0x10000, v37
	v_cmp_eq_u32_sdwa s[4:5], v37, v30 src0_sel:WORD_0 src1_sel:DWORD
	s_nop 1
	v_cndmask_b32_e64 v30, v40, v37, s[4:5]
; %bb.266:
	s_or_b64 exec, exec, s[6:7]
	v_and_b32_e32 v37, 0xffff0000, v36
	v_lshlrev_b32_e32 v36, 16, v31
	v_fmac_f32_e32 v37, v36, v70
	s_mov_b32 s3, 0x7f800000
	v_and_b32_e32 v36, 0x7f800000, v37
	v_cmp_ne_u32_e64 s[4:5], s3, v36
                                        ; implicit-def: $vgpr36
	s_and_saveexec_b64 s[6:7], s[4:5]
	s_xor_b64 s[4:5], exec, s[6:7]
; %bb.267:
	v_bfe_u32 v36, v37, 16, 1
	s_movk_i32 s3, 0x7fff
	v_add3_u32 v36, v37, v36, s3
                                        ; implicit-def: $vgpr37
; %bb.268:
	s_andn2_saveexec_b64 s[6:7], s[4:5]
; %bb.269:
	v_mov_b32_e32 v36, 0
	v_or_b32_e32 v40, 0x10000, v37
	v_cmp_eq_u32_sdwa s[4:5], v37, v36 src0_sel:WORD_0 src1_sel:DWORD
	s_nop 1
	v_cndmask_b32_e64 v36, v40, v37, s[4:5]
; %bb.270:
	s_or_b64 exec, exec, s[6:7]
	v_and_b32_e32 v37, 0xffff0000, v30
	v_and_b32_e32 v30, 0xffff0000, v31
	v_fmac_f32_e32 v37, v30, v69
	s_mov_b32 s3, 0x7f800000
	v_and_b32_e32 v30, 0x7f800000, v37
	v_cmp_ne_u32_e64 s[4:5], s3, v30
                                        ; implicit-def: $vgpr30
	s_and_saveexec_b64 s[6:7], s[4:5]
	s_xor_b64 s[4:5], exec, s[6:7]
; %bb.271:
	v_bfe_u32 v30, v37, 16, 1
	s_movk_i32 s3, 0x7fff
	v_add3_u32 v30, v37, v30, s3
                                        ; implicit-def: $vgpr37
; %bb.272:
	s_andn2_saveexec_b64 s[6:7], s[4:5]
; %bb.273:
	v_mov_b32_e32 v30, 0
	v_or_b32_e32 v31, 0x10000, v37
	v_cmp_eq_u32_sdwa s[4:5], v37, v30 src0_sel:WORD_0 src1_sel:DWORD
	s_nop 1
	v_cndmask_b32_e64 v30, v31, v37, s[4:5]
; %bb.274:
	s_or_b64 exec, exec, s[6:7]
	v_and_b32_e32 v36, 0xffff0000, v36
	v_lshlrev_b32_e32 v31, 16, v32
	v_fmac_f32_e32 v36, v31, v68
	s_mov_b32 s3, 0x7f800000
	v_and_b32_e32 v31, 0x7f800000, v36
	v_cmp_ne_u32_e64 s[4:5], s3, v31
                                        ; implicit-def: $vgpr31
	s_and_saveexec_b64 s[6:7], s[4:5]
	s_xor_b64 s[4:5], exec, s[6:7]
; %bb.275:
	v_bfe_u32 v31, v36, 16, 1
	s_movk_i32 s3, 0x7fff
	v_add3_u32 v31, v36, v31, s3
                                        ; implicit-def: $vgpr36
; %bb.276:
	s_andn2_saveexec_b64 s[6:7], s[4:5]
; %bb.277:
	v_mov_b32_e32 v31, 0
	v_or_b32_e32 v37, 0x10000, v36
	v_cmp_eq_u32_sdwa s[4:5], v36, v31 src0_sel:WORD_0 src1_sel:DWORD
	s_nop 1
	v_cndmask_b32_e64 v31, v37, v36, s[4:5]
; %bb.278:
	s_or_b64 exec, exec, s[6:7]
	v_and_b32_e32 v30, 0xffff0000, v30
	v_and_b32_e32 v32, 0xffff0000, v32
	v_fmac_f32_e32 v30, v32, v67
	s_mov_b32 s3, 0x7f800000
	v_and_b32_e32 v32, 0x7f800000, v30
	v_cmp_ne_u32_e64 s[4:5], s3, v32
                                        ; implicit-def: $vgpr32
	s_and_saveexec_b64 s[6:7], s[4:5]
	s_xor_b64 s[4:5], exec, s[6:7]
; %bb.279:
	v_bfe_u32 v32, v30, 16, 1
	s_movk_i32 s3, 0x7fff
	v_add3_u32 v32, v30, v32, s3
                                        ; implicit-def: $vgpr30
; %bb.280:
	s_andn2_saveexec_b64 s[6:7], s[4:5]
; %bb.281:
	v_mov_b32_e32 v32, 0
	v_or_b32_e32 v36, 0x10000, v30
	v_cmp_eq_u32_sdwa s[4:5], v30, v32 src0_sel:WORD_0 src1_sel:DWORD
	s_nop 1
	v_cndmask_b32_e64 v32, v36, v30, s[4:5]
; %bb.282:
	s_or_b64 exec, exec, s[6:7]
	v_and_b32_e32 v31, 0xffff0000, v31
	v_lshlrev_b32_e32 v30, 16, v33
	v_fmac_f32_e32 v31, v30, v1
	s_mov_b32 s3, 0x7f800000
	v_and_b32_e32 v30, 0x7f800000, v31
	v_cmp_ne_u32_e64 s[4:5], s3, v30
                                        ; implicit-def: $vgpr30
	s_and_saveexec_b64 s[6:7], s[4:5]
	s_xor_b64 s[4:5], exec, s[6:7]
; %bb.283:
	v_bfe_u32 v30, v31, 16, 1
	s_movk_i32 s3, 0x7fff
	v_add3_u32 v30, v31, v30, s3
                                        ; implicit-def: $vgpr31
; %bb.284:
	s_andn2_saveexec_b64 s[6:7], s[4:5]
; %bb.285:
	v_mov_b32_e32 v30, 0
	v_or_b32_e32 v36, 0x10000, v31
	v_cmp_eq_u32_sdwa s[4:5], v31, v30 src0_sel:WORD_0 src1_sel:DWORD
	s_nop 1
	v_cndmask_b32_e64 v30, v36, v31, s[4:5]
; %bb.286:
	s_or_b64 exec, exec, s[6:7]
	v_and_b32_e32 v32, 0xffff0000, v32
	v_and_b32_e32 v31, 0xffff0000, v33
	v_fmac_f32_e32 v32, v31, v66
	s_mov_b32 s3, 0x7f800000
	v_and_b32_e32 v31, 0x7f800000, v32
	v_cmp_ne_u32_e64 s[4:5], s3, v31
                                        ; implicit-def: $vgpr31
	s_and_saveexec_b64 s[6:7], s[4:5]
	s_xor_b64 s[4:5], exec, s[6:7]
; %bb.287:
	v_bfe_u32 v31, v32, 16, 1
	s_movk_i32 s3, 0x7fff
	v_add3_u32 v31, v32, v31, s3
                                        ; implicit-def: $vgpr32
; %bb.288:
	s_andn2_saveexec_b64 s[6:7], s[4:5]
; %bb.289:
	v_mov_b32_e32 v31, 0
	v_or_b32_e32 v33, 0x10000, v32
	v_cmp_eq_u32_sdwa s[4:5], v32, v31 src0_sel:WORD_0 src1_sel:DWORD
	s_nop 1
	v_cndmask_b32_e64 v31, v33, v32, s[4:5]
; %bb.290:
	s_or_b64 exec, exec, s[6:7]
	s_waitcnt vmcnt(6)
	v_lshlrev_b32_e32 v32, 16, v26
	v_mul_f32_e32 v33, v72, v32
	s_mov_b32 s3, 0x7f800000
	v_and_b32_e32 v32, 0x7f800000, v33
	v_cmp_ne_u32_e64 s[4:5], s3, v32
                                        ; implicit-def: $vgpr32
	s_and_saveexec_b64 s[6:7], s[4:5]
	s_xor_b64 s[4:5], exec, s[6:7]
; %bb.291:
	v_bfe_u32 v32, v33, 16, 1
	s_movk_i32 s3, 0x7fff
	v_add3_u32 v32, v33, v32, s3
                                        ; implicit-def: $vgpr33
; %bb.292:
	s_andn2_saveexec_b64 s[6:7], s[4:5]
; %bb.293:
	v_mov_b32_e32 v32, 0
	v_or_b32_e32 v36, 0x10000, v33
	v_cmp_eq_u32_sdwa s[4:5], v33, v32 src0_sel:WORD_0 src1_sel:DWORD
	s_nop 1
	v_cndmask_b32_e64 v32, v36, v33, s[4:5]
; %bb.294:
	s_or_b64 exec, exec, s[6:7]
	v_and_b32_e32 v26, 0xffff0000, v26
	v_mul_f32_e32 v33, v71, v26
	s_mov_b32 s3, 0x7f800000
	v_and_b32_e32 v26, 0x7f800000, v33
	v_cmp_ne_u32_e64 s[4:5], s3, v26
                                        ; implicit-def: $vgpr26
	s_and_saveexec_b64 s[6:7], s[4:5]
	s_xor_b64 s[4:5], exec, s[6:7]
; %bb.295:
	v_bfe_u32 v26, v33, 16, 1
	s_movk_i32 s3, 0x7fff
	v_add3_u32 v26, v33, v26, s3
                                        ; implicit-def: $vgpr33
; %bb.296:
	s_andn2_saveexec_b64 s[6:7], s[4:5]
; %bb.297:
	v_mov_b32_e32 v26, 0
	v_or_b32_e32 v36, 0x10000, v33
	v_cmp_eq_u32_sdwa s[4:5], v33, v26 src0_sel:WORD_0 src1_sel:DWORD
	s_nop 1
	v_cndmask_b32_e64 v26, v36, v33, s[4:5]
; %bb.298:
	s_or_b64 exec, exec, s[6:7]
	v_and_b32_e32 v33, 0xffff0000, v32
	v_lshlrev_b32_e32 v32, 16, v27
	v_fmac_f32_e32 v33, v32, v70
	s_mov_b32 s3, 0x7f800000
	v_and_b32_e32 v32, 0x7f800000, v33
	v_cmp_ne_u32_e64 s[4:5], s3, v32
                                        ; implicit-def: $vgpr32
	s_and_saveexec_b64 s[6:7], s[4:5]
	s_xor_b64 s[4:5], exec, s[6:7]
; %bb.299:
	v_bfe_u32 v32, v33, 16, 1
	s_movk_i32 s3, 0x7fff
	v_add3_u32 v32, v33, v32, s3
                                        ; implicit-def: $vgpr33
; %bb.300:
	s_andn2_saveexec_b64 s[6:7], s[4:5]
; %bb.301:
	v_mov_b32_e32 v32, 0
	v_or_b32_e32 v36, 0x10000, v33
	v_cmp_eq_u32_sdwa s[4:5], v33, v32 src0_sel:WORD_0 src1_sel:DWORD
	s_nop 1
	v_cndmask_b32_e64 v32, v36, v33, s[4:5]
; %bb.302:
	s_or_b64 exec, exec, s[6:7]
	v_and_b32_e32 v33, 0xffff0000, v26
	v_and_b32_e32 v26, 0xffff0000, v27
	v_fmac_f32_e32 v33, v26, v69
	s_mov_b32 s3, 0x7f800000
	v_and_b32_e32 v26, 0x7f800000, v33
	v_cmp_ne_u32_e64 s[4:5], s3, v26
                                        ; implicit-def: $vgpr26
	s_and_saveexec_b64 s[6:7], s[4:5]
	s_xor_b64 s[4:5], exec, s[6:7]
; %bb.303:
	v_bfe_u32 v26, v33, 16, 1
	s_movk_i32 s3, 0x7fff
	v_add3_u32 v26, v33, v26, s3
                                        ; implicit-def: $vgpr33
; %bb.304:
	s_andn2_saveexec_b64 s[6:7], s[4:5]
; %bb.305:
	v_mov_b32_e32 v26, 0
	v_or_b32_e32 v27, 0x10000, v33
	v_cmp_eq_u32_sdwa s[4:5], v33, v26 src0_sel:WORD_0 src1_sel:DWORD
	s_nop 1
	v_cndmask_b32_e64 v26, v27, v33, s[4:5]
; %bb.306:
	s_or_b64 exec, exec, s[6:7]
	v_and_b32_e32 v32, 0xffff0000, v32
	v_lshlrev_b32_e32 v27, 16, v28
	v_fmac_f32_e32 v32, v27, v68
	s_mov_b32 s3, 0x7f800000
	v_and_b32_e32 v27, 0x7f800000, v32
	v_cmp_ne_u32_e64 s[4:5], s3, v27
                                        ; implicit-def: $vgpr27
	s_and_saveexec_b64 s[6:7], s[4:5]
	s_xor_b64 s[4:5], exec, s[6:7]
; %bb.307:
	v_bfe_u32 v27, v32, 16, 1
	s_movk_i32 s3, 0x7fff
	v_add3_u32 v27, v32, v27, s3
                                        ; implicit-def: $vgpr32
; %bb.308:
	s_andn2_saveexec_b64 s[6:7], s[4:5]
; %bb.309:
	v_mov_b32_e32 v27, 0
	v_or_b32_e32 v33, 0x10000, v32
	v_cmp_eq_u32_sdwa s[4:5], v32, v27 src0_sel:WORD_0 src1_sel:DWORD
	s_nop 1
	v_cndmask_b32_e64 v27, v33, v32, s[4:5]
; %bb.310:
	s_or_b64 exec, exec, s[6:7]
	v_and_b32_e32 v26, 0xffff0000, v26
	v_and_b32_e32 v28, 0xffff0000, v28
	v_fmac_f32_e32 v26, v28, v67
	s_mov_b32 s3, 0x7f800000
	v_and_b32_e32 v28, 0x7f800000, v26
	v_cmp_ne_u32_e64 s[4:5], s3, v28
                                        ; implicit-def: $vgpr28
	s_and_saveexec_b64 s[6:7], s[4:5]
	s_xor_b64 s[4:5], exec, s[6:7]
; %bb.311:
	v_bfe_u32 v28, v26, 16, 1
	s_movk_i32 s3, 0x7fff
	v_add3_u32 v28, v26, v28, s3
                                        ; implicit-def: $vgpr26
; %bb.312:
	s_andn2_saveexec_b64 s[6:7], s[4:5]
; %bb.313:
	v_mov_b32_e32 v28, 0
	v_or_b32_e32 v32, 0x10000, v26
	v_cmp_eq_u32_sdwa s[4:5], v26, v28 src0_sel:WORD_0 src1_sel:DWORD
	s_nop 1
	v_cndmask_b32_e64 v28, v32, v26, s[4:5]
; %bb.314:
	s_or_b64 exec, exec, s[6:7]
	v_and_b32_e32 v27, 0xffff0000, v27
	v_lshlrev_b32_e32 v26, 16, v29
	v_fmac_f32_e32 v27, v26, v1
	s_mov_b32 s3, 0x7f800000
	v_and_b32_e32 v26, 0x7f800000, v27
	v_cmp_ne_u32_e64 s[4:5], s3, v26
                                        ; implicit-def: $vgpr26
	s_and_saveexec_b64 s[6:7], s[4:5]
	s_xor_b64 s[4:5], exec, s[6:7]
; %bb.315:
	v_bfe_u32 v26, v27, 16, 1
	s_movk_i32 s3, 0x7fff
	v_add3_u32 v26, v27, v26, s3
                                        ; implicit-def: $vgpr27
; %bb.316:
	s_andn2_saveexec_b64 s[6:7], s[4:5]
; %bb.317:
	v_mov_b32_e32 v26, 0
	v_or_b32_e32 v32, 0x10000, v27
	v_cmp_eq_u32_sdwa s[4:5], v27, v26 src0_sel:WORD_0 src1_sel:DWORD
	s_nop 1
	v_cndmask_b32_e64 v26, v32, v27, s[4:5]
; %bb.318:
	s_or_b64 exec, exec, s[6:7]
	v_and_b32_e32 v28, 0xffff0000, v28
	v_and_b32_e32 v27, 0xffff0000, v29
	v_fmac_f32_e32 v28, v27, v66
	s_mov_b32 s3, 0x7f800000
	v_and_b32_e32 v27, 0x7f800000, v28
	v_cmp_ne_u32_e64 s[4:5], s3, v27
                                        ; implicit-def: $vgpr27
	s_and_saveexec_b64 s[6:7], s[4:5]
	s_xor_b64 s[4:5], exec, s[6:7]
; %bb.319:
	v_bfe_u32 v27, v28, 16, 1
	s_movk_i32 s3, 0x7fff
	v_add3_u32 v27, v28, v27, s3
                                        ; implicit-def: $vgpr28
; %bb.320:
	s_andn2_saveexec_b64 s[6:7], s[4:5]
; %bb.321:
	v_mov_b32_e32 v27, 0
	v_or_b32_e32 v29, 0x10000, v28
	v_cmp_eq_u32_sdwa s[4:5], v28, v27 src0_sel:WORD_0 src1_sel:DWORD
	s_nop 1
	v_cndmask_b32_e64 v27, v29, v28, s[4:5]
; %bb.322:
	s_or_b64 exec, exec, s[6:7]
	s_waitcnt vmcnt(5)
	v_lshlrev_b32_e32 v28, 16, v22
	v_mul_f32_e32 v29, v72, v28
	s_mov_b32 s3, 0x7f800000
	v_and_b32_e32 v28, 0x7f800000, v29
	v_cmp_ne_u32_e64 s[4:5], s3, v28
                                        ; implicit-def: $vgpr28
	s_and_saveexec_b64 s[6:7], s[4:5]
	s_xor_b64 s[4:5], exec, s[6:7]
; %bb.323:
	v_bfe_u32 v28, v29, 16, 1
	s_movk_i32 s3, 0x7fff
	v_add3_u32 v28, v29, v28, s3
                                        ; implicit-def: $vgpr29
; %bb.324:
	s_andn2_saveexec_b64 s[6:7], s[4:5]
; %bb.325:
	v_mov_b32_e32 v28, 0
	v_or_b32_e32 v32, 0x10000, v29
	v_cmp_eq_u32_sdwa s[4:5], v29, v28 src0_sel:WORD_0 src1_sel:DWORD
	s_nop 1
	v_cndmask_b32_e64 v28, v32, v29, s[4:5]
; %bb.326:
	s_or_b64 exec, exec, s[6:7]
	v_and_b32_e32 v22, 0xffff0000, v22
	v_mul_f32_e32 v29, v71, v22
	s_mov_b32 s3, 0x7f800000
	v_and_b32_e32 v22, 0x7f800000, v29
	v_cmp_ne_u32_e64 s[4:5], s3, v22
                                        ; implicit-def: $vgpr22
	s_and_saveexec_b64 s[6:7], s[4:5]
	s_xor_b64 s[4:5], exec, s[6:7]
; %bb.327:
	v_bfe_u32 v22, v29, 16, 1
	s_movk_i32 s3, 0x7fff
	v_add3_u32 v22, v29, v22, s3
                                        ; implicit-def: $vgpr29
; %bb.328:
	s_andn2_saveexec_b64 s[6:7], s[4:5]
; %bb.329:
	v_mov_b32_e32 v22, 0
	v_or_b32_e32 v32, 0x10000, v29
	v_cmp_eq_u32_sdwa s[4:5], v29, v22 src0_sel:WORD_0 src1_sel:DWORD
	s_nop 1
	v_cndmask_b32_e64 v22, v32, v29, s[4:5]
; %bb.330:
	s_or_b64 exec, exec, s[6:7]
	v_and_b32_e32 v29, 0xffff0000, v28
	v_lshlrev_b32_e32 v28, 16, v23
	v_fmac_f32_e32 v29, v28, v70
	s_mov_b32 s3, 0x7f800000
	v_and_b32_e32 v28, 0x7f800000, v29
	v_cmp_ne_u32_e64 s[4:5], s3, v28
                                        ; implicit-def: $vgpr28
	s_and_saveexec_b64 s[6:7], s[4:5]
	s_xor_b64 s[4:5], exec, s[6:7]
; %bb.331:
	v_bfe_u32 v28, v29, 16, 1
	s_movk_i32 s3, 0x7fff
	v_add3_u32 v28, v29, v28, s3
                                        ; implicit-def: $vgpr29
; %bb.332:
	s_andn2_saveexec_b64 s[6:7], s[4:5]
; %bb.333:
	v_mov_b32_e32 v28, 0
	v_or_b32_e32 v32, 0x10000, v29
	v_cmp_eq_u32_sdwa s[4:5], v29, v28 src0_sel:WORD_0 src1_sel:DWORD
	s_nop 1
	v_cndmask_b32_e64 v28, v32, v29, s[4:5]
; %bb.334:
	s_or_b64 exec, exec, s[6:7]
	v_and_b32_e32 v29, 0xffff0000, v22
	v_and_b32_e32 v22, 0xffff0000, v23
	v_fmac_f32_e32 v29, v22, v69
	s_mov_b32 s3, 0x7f800000
	v_and_b32_e32 v22, 0x7f800000, v29
	v_cmp_ne_u32_e64 s[4:5], s3, v22
                                        ; implicit-def: $vgpr22
	s_and_saveexec_b64 s[6:7], s[4:5]
	s_xor_b64 s[4:5], exec, s[6:7]
; %bb.335:
	v_bfe_u32 v22, v29, 16, 1
	s_movk_i32 s3, 0x7fff
	v_add3_u32 v22, v29, v22, s3
                                        ; implicit-def: $vgpr29
; %bb.336:
	s_andn2_saveexec_b64 s[6:7], s[4:5]
; %bb.337:
	v_mov_b32_e32 v22, 0
	v_or_b32_e32 v23, 0x10000, v29
	v_cmp_eq_u32_sdwa s[4:5], v29, v22 src0_sel:WORD_0 src1_sel:DWORD
	s_nop 1
	v_cndmask_b32_e64 v22, v23, v29, s[4:5]
; %bb.338:
	s_or_b64 exec, exec, s[6:7]
	v_and_b32_e32 v28, 0xffff0000, v28
	v_lshlrev_b32_e32 v23, 16, v24
	v_fmac_f32_e32 v28, v23, v68
	s_mov_b32 s3, 0x7f800000
	v_and_b32_e32 v23, 0x7f800000, v28
	v_cmp_ne_u32_e64 s[4:5], s3, v23
                                        ; implicit-def: $vgpr23
	s_and_saveexec_b64 s[6:7], s[4:5]
	s_xor_b64 s[4:5], exec, s[6:7]
; %bb.339:
	v_bfe_u32 v23, v28, 16, 1
	s_movk_i32 s3, 0x7fff
	v_add3_u32 v23, v28, v23, s3
                                        ; implicit-def: $vgpr28
; %bb.340:
	s_andn2_saveexec_b64 s[6:7], s[4:5]
; %bb.341:
	v_mov_b32_e32 v23, 0
	v_or_b32_e32 v29, 0x10000, v28
	v_cmp_eq_u32_sdwa s[4:5], v28, v23 src0_sel:WORD_0 src1_sel:DWORD
	s_nop 1
	v_cndmask_b32_e64 v23, v29, v28, s[4:5]
; %bb.342:
	s_or_b64 exec, exec, s[6:7]
	v_and_b32_e32 v22, 0xffff0000, v22
	v_and_b32_e32 v24, 0xffff0000, v24
	v_fmac_f32_e32 v22, v24, v67
	s_mov_b32 s3, 0x7f800000
	v_and_b32_e32 v24, 0x7f800000, v22
	v_cmp_ne_u32_e64 s[4:5], s3, v24
                                        ; implicit-def: $vgpr24
	s_and_saveexec_b64 s[6:7], s[4:5]
	s_xor_b64 s[4:5], exec, s[6:7]
; %bb.343:
	v_bfe_u32 v24, v22, 16, 1
	s_movk_i32 s3, 0x7fff
	v_add3_u32 v24, v22, v24, s3
                                        ; implicit-def: $vgpr22
; %bb.344:
	s_andn2_saveexec_b64 s[6:7], s[4:5]
; %bb.345:
	v_mov_b32_e32 v24, 0
	v_or_b32_e32 v28, 0x10000, v22
	v_cmp_eq_u32_sdwa s[4:5], v22, v24 src0_sel:WORD_0 src1_sel:DWORD
	s_nop 1
	v_cndmask_b32_e64 v24, v28, v22, s[4:5]
; %bb.346:
	s_or_b64 exec, exec, s[6:7]
	v_and_b32_e32 v23, 0xffff0000, v23
	v_lshlrev_b32_e32 v22, 16, v25
	v_fmac_f32_e32 v23, v22, v1
	s_mov_b32 s3, 0x7f800000
	v_and_b32_e32 v22, 0x7f800000, v23
	v_cmp_ne_u32_e64 s[4:5], s3, v22
                                        ; implicit-def: $vgpr22
	s_and_saveexec_b64 s[6:7], s[4:5]
	s_xor_b64 s[4:5], exec, s[6:7]
; %bb.347:
	v_bfe_u32 v22, v23, 16, 1
	s_movk_i32 s3, 0x7fff
	v_add3_u32 v22, v23, v22, s3
                                        ; implicit-def: $vgpr23
; %bb.348:
	s_andn2_saveexec_b64 s[6:7], s[4:5]
; %bb.349:
	v_mov_b32_e32 v22, 0
	v_or_b32_e32 v28, 0x10000, v23
	v_cmp_eq_u32_sdwa s[4:5], v23, v22 src0_sel:WORD_0 src1_sel:DWORD
	s_nop 1
	v_cndmask_b32_e64 v22, v28, v23, s[4:5]
; %bb.350:
	s_or_b64 exec, exec, s[6:7]
	v_and_b32_e32 v24, 0xffff0000, v24
	v_and_b32_e32 v23, 0xffff0000, v25
	v_fmac_f32_e32 v24, v23, v66
	s_mov_b32 s3, 0x7f800000
	v_and_b32_e32 v23, 0x7f800000, v24
	v_cmp_ne_u32_e64 s[4:5], s3, v23
                                        ; implicit-def: $vgpr23
	s_and_saveexec_b64 s[6:7], s[4:5]
	s_xor_b64 s[4:5], exec, s[6:7]
; %bb.351:
	v_bfe_u32 v23, v24, 16, 1
	s_movk_i32 s3, 0x7fff
	v_add3_u32 v23, v24, v23, s3
                                        ; implicit-def: $vgpr24
; %bb.352:
	s_andn2_saveexec_b64 s[6:7], s[4:5]
; %bb.353:
	v_mov_b32_e32 v23, 0
	v_or_b32_e32 v25, 0x10000, v24
	v_cmp_eq_u32_sdwa s[4:5], v24, v23 src0_sel:WORD_0 src1_sel:DWORD
	s_nop 1
	v_cndmask_b32_e64 v23, v25, v24, s[4:5]
; %bb.354:
	s_or_b64 exec, exec, s[6:7]
	s_waitcnt vmcnt(4)
	v_lshlrev_b32_e32 v24, 16, v18
	v_mul_f32_e32 v25, v72, v24
	s_mov_b32 s3, 0x7f800000
	v_and_b32_e32 v24, 0x7f800000, v25
	v_cmp_ne_u32_e64 s[4:5], s3, v24
                                        ; implicit-def: $vgpr24
	s_and_saveexec_b64 s[6:7], s[4:5]
	s_xor_b64 s[4:5], exec, s[6:7]
; %bb.355:
	v_bfe_u32 v24, v25, 16, 1
	s_movk_i32 s3, 0x7fff
	v_add3_u32 v24, v25, v24, s3
                                        ; implicit-def: $vgpr25
; %bb.356:
	s_andn2_saveexec_b64 s[6:7], s[4:5]
; %bb.357:
	v_mov_b32_e32 v24, 0
	v_or_b32_e32 v28, 0x10000, v25
	v_cmp_eq_u32_sdwa s[4:5], v25, v24 src0_sel:WORD_0 src1_sel:DWORD
	s_nop 1
	v_cndmask_b32_e64 v24, v28, v25, s[4:5]
; %bb.358:
	s_or_b64 exec, exec, s[6:7]
	v_and_b32_e32 v18, 0xffff0000, v18
	v_mul_f32_e32 v25, v71, v18
	s_mov_b32 s3, 0x7f800000
	v_and_b32_e32 v18, 0x7f800000, v25
	v_cmp_ne_u32_e64 s[4:5], s3, v18
                                        ; implicit-def: $vgpr18
	s_and_saveexec_b64 s[6:7], s[4:5]
	s_xor_b64 s[4:5], exec, s[6:7]
; %bb.359:
	v_bfe_u32 v18, v25, 16, 1
	s_movk_i32 s3, 0x7fff
	v_add3_u32 v18, v25, v18, s3
                                        ; implicit-def: $vgpr25
; %bb.360:
	s_andn2_saveexec_b64 s[6:7], s[4:5]
; %bb.361:
	v_mov_b32_e32 v18, 0
	v_or_b32_e32 v28, 0x10000, v25
	v_cmp_eq_u32_sdwa s[4:5], v25, v18 src0_sel:WORD_0 src1_sel:DWORD
	s_nop 1
	v_cndmask_b32_e64 v18, v28, v25, s[4:5]
; %bb.362:
	s_or_b64 exec, exec, s[6:7]
	v_and_b32_e32 v25, 0xffff0000, v24
	v_lshlrev_b32_e32 v24, 16, v19
	v_fmac_f32_e32 v25, v24, v70
	s_mov_b32 s3, 0x7f800000
	v_and_b32_e32 v24, 0x7f800000, v25
	v_cmp_ne_u32_e64 s[4:5], s3, v24
                                        ; implicit-def: $vgpr24
	s_and_saveexec_b64 s[6:7], s[4:5]
	s_xor_b64 s[4:5], exec, s[6:7]
; %bb.363:
	v_bfe_u32 v24, v25, 16, 1
	s_movk_i32 s3, 0x7fff
	v_add3_u32 v24, v25, v24, s3
                                        ; implicit-def: $vgpr25
; %bb.364:
	s_andn2_saveexec_b64 s[6:7], s[4:5]
; %bb.365:
	v_mov_b32_e32 v24, 0
	v_or_b32_e32 v28, 0x10000, v25
	v_cmp_eq_u32_sdwa s[4:5], v25, v24 src0_sel:WORD_0 src1_sel:DWORD
	s_nop 1
	v_cndmask_b32_e64 v24, v28, v25, s[4:5]
; %bb.366:
	s_or_b64 exec, exec, s[6:7]
	v_and_b32_e32 v25, 0xffff0000, v18
	v_and_b32_e32 v18, 0xffff0000, v19
	v_fmac_f32_e32 v25, v18, v69
	s_mov_b32 s3, 0x7f800000
	v_and_b32_e32 v18, 0x7f800000, v25
	v_cmp_ne_u32_e64 s[4:5], s3, v18
                                        ; implicit-def: $vgpr18
	s_and_saveexec_b64 s[6:7], s[4:5]
	s_xor_b64 s[4:5], exec, s[6:7]
; %bb.367:
	v_bfe_u32 v18, v25, 16, 1
	s_movk_i32 s3, 0x7fff
	v_add3_u32 v18, v25, v18, s3
                                        ; implicit-def: $vgpr25
; %bb.368:
	s_andn2_saveexec_b64 s[6:7], s[4:5]
; %bb.369:
	v_mov_b32_e32 v18, 0
	v_or_b32_e32 v19, 0x10000, v25
	v_cmp_eq_u32_sdwa s[4:5], v25, v18 src0_sel:WORD_0 src1_sel:DWORD
	s_nop 1
	v_cndmask_b32_e64 v18, v19, v25, s[4:5]
; %bb.370:
	s_or_b64 exec, exec, s[6:7]
	v_and_b32_e32 v24, 0xffff0000, v24
	v_lshlrev_b32_e32 v19, 16, v20
	v_fmac_f32_e32 v24, v19, v68
	s_mov_b32 s3, 0x7f800000
	v_and_b32_e32 v19, 0x7f800000, v24
	v_cmp_ne_u32_e64 s[4:5], s3, v19
                                        ; implicit-def: $vgpr19
	s_and_saveexec_b64 s[6:7], s[4:5]
	s_xor_b64 s[4:5], exec, s[6:7]
; %bb.371:
	v_bfe_u32 v19, v24, 16, 1
	s_movk_i32 s3, 0x7fff
	v_add3_u32 v19, v24, v19, s3
                                        ; implicit-def: $vgpr24
; %bb.372:
	s_andn2_saveexec_b64 s[6:7], s[4:5]
; %bb.373:
	v_mov_b32_e32 v19, 0
	v_or_b32_e32 v25, 0x10000, v24
	v_cmp_eq_u32_sdwa s[4:5], v24, v19 src0_sel:WORD_0 src1_sel:DWORD
	s_nop 1
	v_cndmask_b32_e64 v19, v25, v24, s[4:5]
; %bb.374:
	s_or_b64 exec, exec, s[6:7]
	v_and_b32_e32 v18, 0xffff0000, v18
	v_and_b32_e32 v20, 0xffff0000, v20
	v_fmac_f32_e32 v18, v20, v67
	s_mov_b32 s3, 0x7f800000
	v_and_b32_e32 v20, 0x7f800000, v18
	v_cmp_ne_u32_e64 s[4:5], s3, v20
                                        ; implicit-def: $vgpr20
	s_and_saveexec_b64 s[6:7], s[4:5]
	s_xor_b64 s[4:5], exec, s[6:7]
; %bb.375:
	v_bfe_u32 v20, v18, 16, 1
	s_movk_i32 s3, 0x7fff
	v_add3_u32 v20, v18, v20, s3
                                        ; implicit-def: $vgpr18
; %bb.376:
	s_andn2_saveexec_b64 s[6:7], s[4:5]
; %bb.377:
	v_mov_b32_e32 v20, 0
	v_or_b32_e32 v24, 0x10000, v18
	v_cmp_eq_u32_sdwa s[4:5], v18, v20 src0_sel:WORD_0 src1_sel:DWORD
	s_nop 1
	v_cndmask_b32_e64 v20, v24, v18, s[4:5]
; %bb.378:
	s_or_b64 exec, exec, s[6:7]
	v_and_b32_e32 v19, 0xffff0000, v19
	v_lshlrev_b32_e32 v18, 16, v21
	v_fmac_f32_e32 v19, v18, v1
	s_mov_b32 s3, 0x7f800000
	v_and_b32_e32 v18, 0x7f800000, v19
	v_cmp_ne_u32_e64 s[4:5], s3, v18
                                        ; implicit-def: $vgpr18
	s_and_saveexec_b64 s[6:7], s[4:5]
	s_xor_b64 s[4:5], exec, s[6:7]
; %bb.379:
	v_bfe_u32 v18, v19, 16, 1
	s_movk_i32 s3, 0x7fff
	v_add3_u32 v18, v19, v18, s3
                                        ; implicit-def: $vgpr19
; %bb.380:
	s_andn2_saveexec_b64 s[6:7], s[4:5]
; %bb.381:
	v_mov_b32_e32 v18, 0
	v_or_b32_e32 v24, 0x10000, v19
	v_cmp_eq_u32_sdwa s[4:5], v19, v18 src0_sel:WORD_0 src1_sel:DWORD
	s_nop 1
	v_cndmask_b32_e64 v18, v24, v19, s[4:5]
; %bb.382:
	s_or_b64 exec, exec, s[6:7]
	v_and_b32_e32 v20, 0xffff0000, v20
	v_and_b32_e32 v19, 0xffff0000, v21
	v_fmac_f32_e32 v20, v19, v66
	s_mov_b32 s3, 0x7f800000
	v_and_b32_e32 v19, 0x7f800000, v20
	v_cmp_ne_u32_e64 s[4:5], s3, v19
                                        ; implicit-def: $vgpr19
	s_and_saveexec_b64 s[6:7], s[4:5]
	s_xor_b64 s[4:5], exec, s[6:7]
; %bb.383:
	v_bfe_u32 v19, v20, 16, 1
	s_movk_i32 s3, 0x7fff
	v_add3_u32 v19, v20, v19, s3
                                        ; implicit-def: $vgpr20
; %bb.384:
	s_andn2_saveexec_b64 s[6:7], s[4:5]
; %bb.385:
	v_mov_b32_e32 v19, 0
	v_or_b32_e32 v21, 0x10000, v20
	v_cmp_eq_u32_sdwa s[4:5], v20, v19 src0_sel:WORD_0 src1_sel:DWORD
	s_nop 1
	v_cndmask_b32_e64 v19, v21, v20, s[4:5]
; %bb.386:
	s_or_b64 exec, exec, s[6:7]
	s_waitcnt vmcnt(3)
	v_lshlrev_b32_e32 v20, 16, v14
	v_mul_f32_e32 v21, v72, v20
	s_mov_b32 s3, 0x7f800000
	v_and_b32_e32 v20, 0x7f800000, v21
	v_cmp_ne_u32_e64 s[4:5], s3, v20
                                        ; implicit-def: $vgpr20
	s_and_saveexec_b64 s[6:7], s[4:5]
	s_xor_b64 s[4:5], exec, s[6:7]
; %bb.387:
	v_bfe_u32 v20, v21, 16, 1
	s_movk_i32 s3, 0x7fff
	v_add3_u32 v20, v21, v20, s3
                                        ; implicit-def: $vgpr21
; %bb.388:
	s_andn2_saveexec_b64 s[6:7], s[4:5]
; %bb.389:
	v_mov_b32_e32 v20, 0
	v_or_b32_e32 v24, 0x10000, v21
	v_cmp_eq_u32_sdwa s[4:5], v21, v20 src0_sel:WORD_0 src1_sel:DWORD
	s_nop 1
	v_cndmask_b32_e64 v20, v24, v21, s[4:5]
; %bb.390:
	s_or_b64 exec, exec, s[6:7]
	v_and_b32_e32 v14, 0xffff0000, v14
	v_mul_f32_e32 v21, v71, v14
	s_mov_b32 s3, 0x7f800000
	v_and_b32_e32 v14, 0x7f800000, v21
	v_cmp_ne_u32_e64 s[4:5], s3, v14
                                        ; implicit-def: $vgpr14
	s_and_saveexec_b64 s[6:7], s[4:5]
	s_xor_b64 s[4:5], exec, s[6:7]
; %bb.391:
	v_bfe_u32 v14, v21, 16, 1
	s_movk_i32 s3, 0x7fff
	v_add3_u32 v14, v21, v14, s3
                                        ; implicit-def: $vgpr21
; %bb.392:
	s_andn2_saveexec_b64 s[6:7], s[4:5]
; %bb.393:
	v_mov_b32_e32 v14, 0
	v_or_b32_e32 v24, 0x10000, v21
	v_cmp_eq_u32_sdwa s[4:5], v21, v14 src0_sel:WORD_0 src1_sel:DWORD
	s_nop 1
	v_cndmask_b32_e64 v14, v24, v21, s[4:5]
; %bb.394:
	s_or_b64 exec, exec, s[6:7]
	v_and_b32_e32 v21, 0xffff0000, v20
	v_lshlrev_b32_e32 v20, 16, v15
	v_fmac_f32_e32 v21, v20, v70
	s_mov_b32 s3, 0x7f800000
	v_and_b32_e32 v20, 0x7f800000, v21
	v_cmp_ne_u32_e64 s[4:5], s3, v20
                                        ; implicit-def: $vgpr20
	s_and_saveexec_b64 s[6:7], s[4:5]
	s_xor_b64 s[4:5], exec, s[6:7]
; %bb.395:
	v_bfe_u32 v20, v21, 16, 1
	s_movk_i32 s3, 0x7fff
	v_add3_u32 v20, v21, v20, s3
                                        ; implicit-def: $vgpr21
; %bb.396:
	s_andn2_saveexec_b64 s[6:7], s[4:5]
; %bb.397:
	v_mov_b32_e32 v20, 0
	v_or_b32_e32 v24, 0x10000, v21
	v_cmp_eq_u32_sdwa s[4:5], v21, v20 src0_sel:WORD_0 src1_sel:DWORD
	s_nop 1
	v_cndmask_b32_e64 v20, v24, v21, s[4:5]
; %bb.398:
	s_or_b64 exec, exec, s[6:7]
	v_and_b32_e32 v21, 0xffff0000, v14
	v_and_b32_e32 v14, 0xffff0000, v15
	v_fmac_f32_e32 v21, v14, v69
	s_mov_b32 s3, 0x7f800000
	v_and_b32_e32 v14, 0x7f800000, v21
	v_cmp_ne_u32_e64 s[4:5], s3, v14
                                        ; implicit-def: $vgpr14
	s_and_saveexec_b64 s[6:7], s[4:5]
	s_xor_b64 s[4:5], exec, s[6:7]
; %bb.399:
	v_bfe_u32 v14, v21, 16, 1
	s_movk_i32 s3, 0x7fff
	v_add3_u32 v14, v21, v14, s3
                                        ; implicit-def: $vgpr21
; %bb.400:
	s_andn2_saveexec_b64 s[6:7], s[4:5]
; %bb.401:
	v_mov_b32_e32 v14, 0
	v_or_b32_e32 v15, 0x10000, v21
	v_cmp_eq_u32_sdwa s[4:5], v21, v14 src0_sel:WORD_0 src1_sel:DWORD
	s_nop 1
	v_cndmask_b32_e64 v14, v15, v21, s[4:5]
; %bb.402:
	s_or_b64 exec, exec, s[6:7]
	v_and_b32_e32 v20, 0xffff0000, v20
	v_lshlrev_b32_e32 v15, 16, v16
	v_fmac_f32_e32 v20, v15, v68
	s_mov_b32 s3, 0x7f800000
	v_and_b32_e32 v15, 0x7f800000, v20
	v_cmp_ne_u32_e64 s[4:5], s3, v15
                                        ; implicit-def: $vgpr15
	s_and_saveexec_b64 s[6:7], s[4:5]
	s_xor_b64 s[4:5], exec, s[6:7]
; %bb.403:
	v_bfe_u32 v15, v20, 16, 1
	s_movk_i32 s3, 0x7fff
	v_add3_u32 v15, v20, v15, s3
                                        ; implicit-def: $vgpr20
; %bb.404:
	s_andn2_saveexec_b64 s[6:7], s[4:5]
; %bb.405:
	v_mov_b32_e32 v15, 0
	v_or_b32_e32 v21, 0x10000, v20
	v_cmp_eq_u32_sdwa s[4:5], v20, v15 src0_sel:WORD_0 src1_sel:DWORD
	s_nop 1
	v_cndmask_b32_e64 v15, v21, v20, s[4:5]
; %bb.406:
	s_or_b64 exec, exec, s[6:7]
	v_and_b32_e32 v14, 0xffff0000, v14
	v_and_b32_e32 v16, 0xffff0000, v16
	v_fmac_f32_e32 v14, v16, v67
	s_mov_b32 s3, 0x7f800000
	v_and_b32_e32 v16, 0x7f800000, v14
	v_cmp_ne_u32_e64 s[4:5], s3, v16
                                        ; implicit-def: $vgpr16
	s_and_saveexec_b64 s[6:7], s[4:5]
	s_xor_b64 s[4:5], exec, s[6:7]
; %bb.407:
	v_bfe_u32 v16, v14, 16, 1
	s_movk_i32 s3, 0x7fff
	v_add3_u32 v16, v14, v16, s3
                                        ; implicit-def: $vgpr14
; %bb.408:
	s_andn2_saveexec_b64 s[6:7], s[4:5]
; %bb.409:
	v_mov_b32_e32 v16, 0
	v_or_b32_e32 v20, 0x10000, v14
	v_cmp_eq_u32_sdwa s[4:5], v14, v16 src0_sel:WORD_0 src1_sel:DWORD
	s_nop 1
	v_cndmask_b32_e64 v16, v20, v14, s[4:5]
; %bb.410:
	s_or_b64 exec, exec, s[6:7]
	v_and_b32_e32 v15, 0xffff0000, v15
	v_lshlrev_b32_e32 v14, 16, v17
	v_fmac_f32_e32 v15, v14, v1
	s_mov_b32 s3, 0x7f800000
	v_and_b32_e32 v14, 0x7f800000, v15
	v_cmp_ne_u32_e64 s[4:5], s3, v14
                                        ; implicit-def: $vgpr14
	s_and_saveexec_b64 s[6:7], s[4:5]
	s_xor_b64 s[4:5], exec, s[6:7]
; %bb.411:
	v_bfe_u32 v14, v15, 16, 1
	s_movk_i32 s3, 0x7fff
	v_add3_u32 v14, v15, v14, s3
                                        ; implicit-def: $vgpr15
; %bb.412:
	s_andn2_saveexec_b64 s[6:7], s[4:5]
; %bb.413:
	v_mov_b32_e32 v14, 0
	v_or_b32_e32 v20, 0x10000, v15
	v_cmp_eq_u32_sdwa s[4:5], v15, v14 src0_sel:WORD_0 src1_sel:DWORD
	s_nop 1
	v_cndmask_b32_e64 v14, v20, v15, s[4:5]
; %bb.414:
	s_or_b64 exec, exec, s[6:7]
	v_and_b32_e32 v16, 0xffff0000, v16
	v_and_b32_e32 v15, 0xffff0000, v17
	v_fmac_f32_e32 v16, v15, v66
	s_mov_b32 s3, 0x7f800000
	v_and_b32_e32 v15, 0x7f800000, v16
	v_cmp_ne_u32_e64 s[4:5], s3, v15
                                        ; implicit-def: $vgpr15
	s_and_saveexec_b64 s[6:7], s[4:5]
	s_xor_b64 s[4:5], exec, s[6:7]
; %bb.415:
	v_bfe_u32 v15, v16, 16, 1
	s_movk_i32 s3, 0x7fff
	v_add3_u32 v15, v16, v15, s3
                                        ; implicit-def: $vgpr16
; %bb.416:
	s_andn2_saveexec_b64 s[6:7], s[4:5]
; %bb.417:
	v_mov_b32_e32 v15, 0
	v_or_b32_e32 v17, 0x10000, v16
	v_cmp_eq_u32_sdwa s[4:5], v16, v15 src0_sel:WORD_0 src1_sel:DWORD
	s_nop 1
	v_cndmask_b32_e64 v15, v17, v16, s[4:5]
; %bb.418:
	s_or_b64 exec, exec, s[6:7]
	s_waitcnt vmcnt(2)
	v_lshlrev_b32_e32 v16, 16, v10
	v_mul_f32_e32 v17, v72, v16
	s_mov_b32 s3, 0x7f800000
	v_and_b32_e32 v16, 0x7f800000, v17
	v_cmp_ne_u32_e64 s[4:5], s3, v16
                                        ; implicit-def: $vgpr16
	s_and_saveexec_b64 s[6:7], s[4:5]
	s_xor_b64 s[4:5], exec, s[6:7]
; %bb.419:
	v_bfe_u32 v16, v17, 16, 1
	s_movk_i32 s3, 0x7fff
	v_add3_u32 v16, v17, v16, s3
                                        ; implicit-def: $vgpr17
; %bb.420:
	s_andn2_saveexec_b64 s[6:7], s[4:5]
; %bb.421:
	v_mov_b32_e32 v16, 0
	v_or_b32_e32 v20, 0x10000, v17
	v_cmp_eq_u32_sdwa s[4:5], v17, v16 src0_sel:WORD_0 src1_sel:DWORD
	s_nop 1
	v_cndmask_b32_e64 v16, v20, v17, s[4:5]
; %bb.422:
	s_or_b64 exec, exec, s[6:7]
	v_and_b32_e32 v10, 0xffff0000, v10
	v_mul_f32_e32 v17, v71, v10
	s_mov_b32 s3, 0x7f800000
	v_and_b32_e32 v10, 0x7f800000, v17
	v_cmp_ne_u32_e64 s[4:5], s3, v10
                                        ; implicit-def: $vgpr10
	s_and_saveexec_b64 s[6:7], s[4:5]
	s_xor_b64 s[4:5], exec, s[6:7]
; %bb.423:
	v_bfe_u32 v10, v17, 16, 1
	s_movk_i32 s3, 0x7fff
	v_add3_u32 v10, v17, v10, s3
                                        ; implicit-def: $vgpr17
; %bb.424:
	s_andn2_saveexec_b64 s[6:7], s[4:5]
; %bb.425:
	v_mov_b32_e32 v10, 0
	v_or_b32_e32 v20, 0x10000, v17
	v_cmp_eq_u32_sdwa s[4:5], v17, v10 src0_sel:WORD_0 src1_sel:DWORD
	s_nop 1
	v_cndmask_b32_e64 v10, v20, v17, s[4:5]
; %bb.426:
	s_or_b64 exec, exec, s[6:7]
	v_and_b32_e32 v17, 0xffff0000, v16
	v_lshlrev_b32_e32 v16, 16, v11
	v_fmac_f32_e32 v17, v16, v70
	s_mov_b32 s3, 0x7f800000
	v_and_b32_e32 v16, 0x7f800000, v17
	v_cmp_ne_u32_e64 s[4:5], s3, v16
                                        ; implicit-def: $vgpr16
	s_and_saveexec_b64 s[6:7], s[4:5]
	s_xor_b64 s[4:5], exec, s[6:7]
; %bb.427:
	v_bfe_u32 v16, v17, 16, 1
	s_movk_i32 s3, 0x7fff
	v_add3_u32 v16, v17, v16, s3
                                        ; implicit-def: $vgpr17
; %bb.428:
	s_andn2_saveexec_b64 s[6:7], s[4:5]
; %bb.429:
	v_mov_b32_e32 v16, 0
	v_or_b32_e32 v20, 0x10000, v17
	v_cmp_eq_u32_sdwa s[4:5], v17, v16 src0_sel:WORD_0 src1_sel:DWORD
	s_nop 1
	v_cndmask_b32_e64 v16, v20, v17, s[4:5]
; %bb.430:
	s_or_b64 exec, exec, s[6:7]
	v_and_b32_e32 v17, 0xffff0000, v10
	v_and_b32_e32 v10, 0xffff0000, v11
	v_fmac_f32_e32 v17, v10, v69
	s_mov_b32 s3, 0x7f800000
	v_and_b32_e32 v10, 0x7f800000, v17
	v_cmp_ne_u32_e64 s[4:5], s3, v10
                                        ; implicit-def: $vgpr10
	s_and_saveexec_b64 s[6:7], s[4:5]
	s_xor_b64 s[4:5], exec, s[6:7]
; %bb.431:
	v_bfe_u32 v10, v17, 16, 1
	s_movk_i32 s3, 0x7fff
	v_add3_u32 v10, v17, v10, s3
                                        ; implicit-def: $vgpr17
; %bb.432:
	s_andn2_saveexec_b64 s[6:7], s[4:5]
; %bb.433:
	v_mov_b32_e32 v10, 0
	v_or_b32_e32 v11, 0x10000, v17
	v_cmp_eq_u32_sdwa s[4:5], v17, v10 src0_sel:WORD_0 src1_sel:DWORD
	s_nop 1
	v_cndmask_b32_e64 v10, v11, v17, s[4:5]
; %bb.434:
	s_or_b64 exec, exec, s[6:7]
	v_and_b32_e32 v16, 0xffff0000, v16
	v_lshlrev_b32_e32 v11, 16, v12
	v_fmac_f32_e32 v16, v11, v68
	s_mov_b32 s3, 0x7f800000
	v_and_b32_e32 v11, 0x7f800000, v16
	v_cmp_ne_u32_e64 s[4:5], s3, v11
                                        ; implicit-def: $vgpr11
	s_and_saveexec_b64 s[6:7], s[4:5]
	s_xor_b64 s[4:5], exec, s[6:7]
; %bb.435:
	v_bfe_u32 v11, v16, 16, 1
	s_movk_i32 s3, 0x7fff
	v_add3_u32 v11, v16, v11, s3
                                        ; implicit-def: $vgpr16
; %bb.436:
	s_andn2_saveexec_b64 s[6:7], s[4:5]
; %bb.437:
	v_mov_b32_e32 v11, 0
	v_or_b32_e32 v17, 0x10000, v16
	v_cmp_eq_u32_sdwa s[4:5], v16, v11 src0_sel:WORD_0 src1_sel:DWORD
	s_nop 1
	v_cndmask_b32_e64 v11, v17, v16, s[4:5]
; %bb.438:
	s_or_b64 exec, exec, s[6:7]
	v_and_b32_e32 v10, 0xffff0000, v10
	v_and_b32_e32 v12, 0xffff0000, v12
	v_fmac_f32_e32 v10, v12, v67
	s_mov_b32 s3, 0x7f800000
	v_and_b32_e32 v12, 0x7f800000, v10
	v_cmp_ne_u32_e64 s[4:5], s3, v12
                                        ; implicit-def: $vgpr12
	s_and_saveexec_b64 s[6:7], s[4:5]
	s_xor_b64 s[4:5], exec, s[6:7]
; %bb.439:
	v_bfe_u32 v12, v10, 16, 1
	s_movk_i32 s3, 0x7fff
	v_add3_u32 v12, v10, v12, s3
                                        ; implicit-def: $vgpr10
; %bb.440:
	s_andn2_saveexec_b64 s[6:7], s[4:5]
; %bb.441:
	v_mov_b32_e32 v12, 0
	v_or_b32_e32 v16, 0x10000, v10
	v_cmp_eq_u32_sdwa s[4:5], v10, v12 src0_sel:WORD_0 src1_sel:DWORD
	s_nop 1
	v_cndmask_b32_e64 v12, v16, v10, s[4:5]
; %bb.442:
	s_or_b64 exec, exec, s[6:7]
	v_and_b32_e32 v11, 0xffff0000, v11
	v_lshlrev_b32_e32 v10, 16, v13
	v_fmac_f32_e32 v11, v10, v1
	s_mov_b32 s3, 0x7f800000
	v_and_b32_e32 v10, 0x7f800000, v11
	v_cmp_ne_u32_e64 s[4:5], s3, v10
                                        ; implicit-def: $vgpr10
	s_and_saveexec_b64 s[6:7], s[4:5]
	s_xor_b64 s[4:5], exec, s[6:7]
; %bb.443:
	v_bfe_u32 v10, v11, 16, 1
	s_movk_i32 s3, 0x7fff
	v_add3_u32 v10, v11, v10, s3
                                        ; implicit-def: $vgpr11
; %bb.444:
	s_andn2_saveexec_b64 s[6:7], s[4:5]
; %bb.445:
	v_mov_b32_e32 v10, 0
	v_or_b32_e32 v16, 0x10000, v11
	v_cmp_eq_u32_sdwa s[4:5], v11, v10 src0_sel:WORD_0 src1_sel:DWORD
	s_nop 1
	v_cndmask_b32_e64 v10, v16, v11, s[4:5]
; %bb.446:
	s_or_b64 exec, exec, s[6:7]
	v_and_b32_e32 v12, 0xffff0000, v12
	v_and_b32_e32 v11, 0xffff0000, v13
	v_fmac_f32_e32 v12, v11, v66
	s_mov_b32 s3, 0x7f800000
	v_and_b32_e32 v11, 0x7f800000, v12
	v_cmp_ne_u32_e64 s[4:5], s3, v11
                                        ; implicit-def: $vgpr11
	s_and_saveexec_b64 s[6:7], s[4:5]
	s_xor_b64 s[4:5], exec, s[6:7]
; %bb.447:
	v_bfe_u32 v11, v12, 16, 1
	s_movk_i32 s3, 0x7fff
	v_add3_u32 v11, v12, v11, s3
                                        ; implicit-def: $vgpr12
; %bb.448:
	s_andn2_saveexec_b64 s[6:7], s[4:5]
; %bb.449:
	v_mov_b32_e32 v11, 0
	v_or_b32_e32 v13, 0x10000, v12
	v_cmp_eq_u32_sdwa s[4:5], v12, v11 src0_sel:WORD_0 src1_sel:DWORD
	s_nop 1
	v_cndmask_b32_e64 v11, v13, v12, s[4:5]
; %bb.450:
	s_or_b64 exec, exec, s[6:7]
	s_waitcnt vmcnt(1)
	v_lshlrev_b32_e32 v12, 16, v6
	v_mul_f32_e32 v13, v72, v12
	s_mov_b32 s3, 0x7f800000
	v_and_b32_e32 v12, 0x7f800000, v13
	v_cmp_ne_u32_e64 s[4:5], s3, v12
                                        ; implicit-def: $vgpr12
	s_and_saveexec_b64 s[6:7], s[4:5]
	s_xor_b64 s[4:5], exec, s[6:7]
; %bb.451:
	v_bfe_u32 v12, v13, 16, 1
	s_movk_i32 s3, 0x7fff
	v_add3_u32 v12, v13, v12, s3
                                        ; implicit-def: $vgpr13
; %bb.452:
	s_andn2_saveexec_b64 s[6:7], s[4:5]
; %bb.453:
	v_mov_b32_e32 v12, 0
	v_or_b32_e32 v16, 0x10000, v13
	v_cmp_eq_u32_sdwa s[4:5], v13, v12 src0_sel:WORD_0 src1_sel:DWORD
	s_nop 1
	v_cndmask_b32_e64 v12, v16, v13, s[4:5]
; %bb.454:
	s_or_b64 exec, exec, s[6:7]
	v_and_b32_e32 v6, 0xffff0000, v6
	v_mul_f32_e32 v13, v71, v6
	s_mov_b32 s3, 0x7f800000
	v_and_b32_e32 v6, 0x7f800000, v13
	v_cmp_ne_u32_e64 s[4:5], s3, v6
                                        ; implicit-def: $vgpr6
	s_and_saveexec_b64 s[6:7], s[4:5]
	s_xor_b64 s[4:5], exec, s[6:7]
; %bb.455:
	v_bfe_u32 v6, v13, 16, 1
	s_movk_i32 s3, 0x7fff
	v_add3_u32 v6, v13, v6, s3
                                        ; implicit-def: $vgpr13
; %bb.456:
	s_andn2_saveexec_b64 s[6:7], s[4:5]
; %bb.457:
	v_mov_b32_e32 v6, 0
	v_or_b32_e32 v16, 0x10000, v13
	v_cmp_eq_u32_sdwa s[4:5], v13, v6 src0_sel:WORD_0 src1_sel:DWORD
	s_nop 1
	v_cndmask_b32_e64 v6, v16, v13, s[4:5]
; %bb.458:
	s_or_b64 exec, exec, s[6:7]
	v_and_b32_e32 v13, 0xffff0000, v12
	v_lshlrev_b32_e32 v12, 16, v7
	v_fmac_f32_e32 v13, v12, v70
	s_mov_b32 s3, 0x7f800000
	v_and_b32_e32 v12, 0x7f800000, v13
	v_cmp_ne_u32_e64 s[4:5], s3, v12
                                        ; implicit-def: $vgpr12
	s_and_saveexec_b64 s[6:7], s[4:5]
	s_xor_b64 s[4:5], exec, s[6:7]
; %bb.459:
	v_bfe_u32 v12, v13, 16, 1
	s_movk_i32 s3, 0x7fff
	v_add3_u32 v12, v13, v12, s3
                                        ; implicit-def: $vgpr13
; %bb.460:
	s_andn2_saveexec_b64 s[6:7], s[4:5]
; %bb.461:
	v_mov_b32_e32 v12, 0
	v_or_b32_e32 v16, 0x10000, v13
	v_cmp_eq_u32_sdwa s[4:5], v13, v12 src0_sel:WORD_0 src1_sel:DWORD
	s_nop 1
	v_cndmask_b32_e64 v12, v16, v13, s[4:5]
; %bb.462:
	s_or_b64 exec, exec, s[6:7]
	v_and_b32_e32 v13, 0xffff0000, v6
	v_and_b32_e32 v6, 0xffff0000, v7
	v_fmac_f32_e32 v13, v6, v69
	s_mov_b32 s3, 0x7f800000
	v_and_b32_e32 v6, 0x7f800000, v13
	v_cmp_ne_u32_e64 s[4:5], s3, v6
                                        ; implicit-def: $vgpr6
	s_and_saveexec_b64 s[6:7], s[4:5]
	s_xor_b64 s[4:5], exec, s[6:7]
; %bb.463:
	v_bfe_u32 v6, v13, 16, 1
	s_movk_i32 s3, 0x7fff
	v_add3_u32 v6, v13, v6, s3
                                        ; implicit-def: $vgpr13
; %bb.464:
	s_andn2_saveexec_b64 s[6:7], s[4:5]
; %bb.465:
	v_mov_b32_e32 v6, 0
	v_or_b32_e32 v7, 0x10000, v13
	v_cmp_eq_u32_sdwa s[4:5], v13, v6 src0_sel:WORD_0 src1_sel:DWORD
	s_nop 1
	v_cndmask_b32_e64 v6, v7, v13, s[4:5]
; %bb.466:
	s_or_b64 exec, exec, s[6:7]
	v_and_b32_e32 v12, 0xffff0000, v12
	v_lshlrev_b32_e32 v7, 16, v8
	v_fmac_f32_e32 v12, v7, v68
	s_mov_b32 s3, 0x7f800000
	v_and_b32_e32 v7, 0x7f800000, v12
	v_cmp_ne_u32_e64 s[4:5], s3, v7
                                        ; implicit-def: $vgpr7
	s_and_saveexec_b64 s[6:7], s[4:5]
	s_xor_b64 s[4:5], exec, s[6:7]
; %bb.467:
	v_bfe_u32 v7, v12, 16, 1
	s_movk_i32 s3, 0x7fff
	v_add3_u32 v7, v12, v7, s3
                                        ; implicit-def: $vgpr12
; %bb.468:
	s_andn2_saveexec_b64 s[6:7], s[4:5]
; %bb.469:
	v_mov_b32_e32 v7, 0
	v_or_b32_e32 v13, 0x10000, v12
	v_cmp_eq_u32_sdwa s[4:5], v12, v7 src0_sel:WORD_0 src1_sel:DWORD
	s_nop 1
	v_cndmask_b32_e64 v7, v13, v12, s[4:5]
; %bb.470:
	s_or_b64 exec, exec, s[6:7]
	v_and_b32_e32 v6, 0xffff0000, v6
	v_and_b32_e32 v8, 0xffff0000, v8
	v_fmac_f32_e32 v6, v8, v67
	s_mov_b32 s3, 0x7f800000
	v_and_b32_e32 v8, 0x7f800000, v6
	v_cmp_ne_u32_e64 s[4:5], s3, v8
                                        ; implicit-def: $vgpr8
	s_and_saveexec_b64 s[6:7], s[4:5]
	s_xor_b64 s[4:5], exec, s[6:7]
; %bb.471:
	v_bfe_u32 v8, v6, 16, 1
	s_movk_i32 s3, 0x7fff
	v_add3_u32 v8, v6, v8, s3
                                        ; implicit-def: $vgpr6
; %bb.472:
	s_andn2_saveexec_b64 s[6:7], s[4:5]
; %bb.473:
	v_mov_b32_e32 v8, 0
	v_or_b32_e32 v12, 0x10000, v6
	v_cmp_eq_u32_sdwa s[4:5], v6, v8 src0_sel:WORD_0 src1_sel:DWORD
	s_nop 1
	v_cndmask_b32_e64 v8, v12, v6, s[4:5]
; %bb.474:
	s_or_b64 exec, exec, s[6:7]
	v_and_b32_e32 v7, 0xffff0000, v7
	v_lshlrev_b32_e32 v6, 16, v9
	v_fmac_f32_e32 v7, v6, v1
	s_mov_b32 s3, 0x7f800000
	v_and_b32_e32 v6, 0x7f800000, v7
	v_cmp_ne_u32_e64 s[4:5], s3, v6
                                        ; implicit-def: $vgpr6
	s_and_saveexec_b64 s[6:7], s[4:5]
	s_xor_b64 s[4:5], exec, s[6:7]
; %bb.475:
	v_bfe_u32 v6, v7, 16, 1
	s_movk_i32 s3, 0x7fff
	v_add3_u32 v6, v7, v6, s3
                                        ; implicit-def: $vgpr7
; %bb.476:
	s_andn2_saveexec_b64 s[6:7], s[4:5]
; %bb.477:
	v_mov_b32_e32 v6, 0
	v_or_b32_e32 v12, 0x10000, v7
	v_cmp_eq_u32_sdwa s[4:5], v7, v6 src0_sel:WORD_0 src1_sel:DWORD
	s_nop 1
	v_cndmask_b32_e64 v6, v12, v7, s[4:5]
; %bb.478:
	s_or_b64 exec, exec, s[6:7]
	v_and_b32_e32 v8, 0xffff0000, v8
	v_and_b32_e32 v7, 0xffff0000, v9
	v_fmac_f32_e32 v8, v7, v66
	s_mov_b32 s3, 0x7f800000
	v_and_b32_e32 v7, 0x7f800000, v8
	v_cmp_ne_u32_e64 s[4:5], s3, v7
                                        ; implicit-def: $vgpr7
	s_and_saveexec_b64 s[6:7], s[4:5]
	s_xor_b64 s[4:5], exec, s[6:7]
; %bb.479:
	v_bfe_u32 v7, v8, 16, 1
	s_movk_i32 s3, 0x7fff
	v_add3_u32 v7, v8, v7, s3
                                        ; implicit-def: $vgpr8
; %bb.480:
	s_andn2_saveexec_b64 s[6:7], s[4:5]
; %bb.481:
	v_mov_b32_e32 v7, 0
	v_or_b32_e32 v9, 0x10000, v8
	v_cmp_eq_u32_sdwa s[4:5], v8, v7 src0_sel:WORD_0 src1_sel:DWORD
	s_nop 1
	v_cndmask_b32_e64 v7, v9, v8, s[4:5]
; %bb.482:
	s_or_b64 exec, exec, s[6:7]
	s_waitcnt vmcnt(0)
	v_lshlrev_b32_e32 v8, 16, v2
	v_mul_f32_e32 v9, v72, v8
	s_mov_b32 s3, 0x7f800000
	v_and_b32_e32 v8, 0x7f800000, v9
	v_cmp_ne_u32_e64 s[4:5], s3, v8
                                        ; implicit-def: $vgpr8
	s_and_saveexec_b64 s[6:7], s[4:5]
	s_xor_b64 s[4:5], exec, s[6:7]
; %bb.483:
	v_bfe_u32 v8, v9, 16, 1
	s_movk_i32 s3, 0x7fff
	v_add3_u32 v8, v9, v8, s3
                                        ; implicit-def: $vgpr9
; %bb.484:
	s_andn2_saveexec_b64 s[6:7], s[4:5]
; %bb.485:
	v_mov_b32_e32 v8, 0
	v_or_b32_e32 v12, 0x10000, v9
	v_cmp_eq_u32_sdwa s[4:5], v9, v8 src0_sel:WORD_0 src1_sel:DWORD
	s_nop 1
	v_cndmask_b32_e64 v8, v12, v9, s[4:5]
; %bb.486:
	s_or_b64 exec, exec, s[6:7]
	v_and_b32_e32 v2, 0xffff0000, v2
	v_mul_f32_e32 v9, v71, v2
	s_mov_b32 s3, 0x7f800000
	v_and_b32_e32 v2, 0x7f800000, v9
	v_cmp_ne_u32_e64 s[4:5], s3, v2
                                        ; implicit-def: $vgpr2
	s_and_saveexec_b64 s[6:7], s[4:5]
	s_xor_b64 s[4:5], exec, s[6:7]
; %bb.487:
	v_bfe_u32 v2, v9, 16, 1
	s_movk_i32 s3, 0x7fff
	v_add3_u32 v2, v9, v2, s3
                                        ; implicit-def: $vgpr9
; %bb.488:
	s_andn2_saveexec_b64 s[6:7], s[4:5]
; %bb.489:
	v_mov_b32_e32 v2, 0
	v_or_b32_e32 v12, 0x10000, v9
	v_cmp_eq_u32_sdwa s[4:5], v9, v2 src0_sel:WORD_0 src1_sel:DWORD
	s_nop 1
	v_cndmask_b32_e64 v2, v12, v9, s[4:5]
; %bb.490:
	s_or_b64 exec, exec, s[6:7]
	v_and_b32_e32 v9, 0xffff0000, v8
	v_lshlrev_b32_e32 v8, 16, v3
	v_fmac_f32_e32 v9, v8, v70
	s_mov_b32 s3, 0x7f800000
	v_and_b32_e32 v8, 0x7f800000, v9
	v_cmp_ne_u32_e64 s[4:5], s3, v8
                                        ; implicit-def: $vgpr8
	s_and_saveexec_b64 s[6:7], s[4:5]
	s_xor_b64 s[4:5], exec, s[6:7]
; %bb.491:
	v_bfe_u32 v8, v9, 16, 1
	s_movk_i32 s3, 0x7fff
	v_add3_u32 v8, v9, v8, s3
                                        ; implicit-def: $vgpr9
; %bb.492:
	s_andn2_saveexec_b64 s[6:7], s[4:5]
; %bb.493:
	v_mov_b32_e32 v8, 0
	v_or_b32_e32 v12, 0x10000, v9
	v_cmp_eq_u32_sdwa s[4:5], v9, v8 src0_sel:WORD_0 src1_sel:DWORD
	s_nop 1
	v_cndmask_b32_e64 v8, v12, v9, s[4:5]
; %bb.494:
	s_or_b64 exec, exec, s[6:7]
	v_and_b32_e32 v9, 0xffff0000, v2
	v_and_b32_e32 v2, 0xffff0000, v3
	v_fmac_f32_e32 v9, v2, v69
	s_mov_b32 s3, 0x7f800000
	v_and_b32_e32 v2, 0x7f800000, v9
	v_cmp_ne_u32_e64 s[4:5], s3, v2
                                        ; implicit-def: $vgpr2
	s_and_saveexec_b64 s[6:7], s[4:5]
	s_xor_b64 s[4:5], exec, s[6:7]
; %bb.495:
	v_bfe_u32 v2, v9, 16, 1
	s_movk_i32 s3, 0x7fff
	v_add3_u32 v2, v9, v2, s3
                                        ; implicit-def: $vgpr9
; %bb.496:
	s_andn2_saveexec_b64 s[6:7], s[4:5]
; %bb.497:
	v_mov_b32_e32 v2, 0
	v_or_b32_e32 v3, 0x10000, v9
	v_cmp_eq_u32_sdwa s[4:5], v9, v2 src0_sel:WORD_0 src1_sel:DWORD
	s_nop 1
	v_cndmask_b32_e64 v2, v3, v9, s[4:5]
; %bb.498:
	s_or_b64 exec, exec, s[6:7]
	v_and_b32_e32 v8, 0xffff0000, v8
	v_lshlrev_b32_e32 v3, 16, v4
	v_fmac_f32_e32 v8, v3, v68
	s_mov_b32 s3, 0x7f800000
	v_and_b32_e32 v3, 0x7f800000, v8
	v_cmp_ne_u32_e64 s[4:5], s3, v3
                                        ; implicit-def: $vgpr3
	s_and_saveexec_b64 s[6:7], s[4:5]
	s_xor_b64 s[4:5], exec, s[6:7]
; %bb.499:
	v_bfe_u32 v3, v8, 16, 1
	s_movk_i32 s3, 0x7fff
	v_add3_u32 v3, v8, v3, s3
                                        ; implicit-def: $vgpr8
; %bb.500:
	s_andn2_saveexec_b64 s[6:7], s[4:5]
; %bb.501:
	v_mov_b32_e32 v3, 0
	v_or_b32_e32 v9, 0x10000, v8
	v_cmp_eq_u32_sdwa s[4:5], v8, v3 src0_sel:WORD_0 src1_sel:DWORD
	s_nop 1
	v_cndmask_b32_e64 v3, v9, v8, s[4:5]
; %bb.502:
	s_or_b64 exec, exec, s[6:7]
	v_and_b32_e32 v8, 0xffff0000, v2
	v_and_b32_e32 v2, 0xffff0000, v4
	v_fmac_f32_e32 v8, v2, v67
	s_mov_b32 s3, 0x7f800000
	v_and_b32_e32 v2, 0x7f800000, v8
	v_cmp_ne_u32_e64 s[4:5], s3, v2
                                        ; implicit-def: $vgpr2
	s_and_saveexec_b64 s[6:7], s[4:5]
	s_xor_b64 s[4:5], exec, s[6:7]
; %bb.503:
	v_bfe_u32 v2, v8, 16, 1
	s_movk_i32 s3, 0x7fff
	v_add3_u32 v2, v8, v2, s3
                                        ; implicit-def: $vgpr8
; %bb.504:
	s_andn2_saveexec_b64 s[6:7], s[4:5]
; %bb.505:
	v_mov_b32_e32 v2, 0
	v_or_b32_e32 v4, 0x10000, v8
	v_cmp_eq_u32_sdwa s[4:5], v8, v2 src0_sel:WORD_0 src1_sel:DWORD
	s_nop 1
	v_cndmask_b32_e64 v2, v4, v8, s[4:5]
; %bb.506:
	s_or_b64 exec, exec, s[6:7]
	v_and_b32_e32 v3, 0xffff0000, v3
	v_lshlrev_b32_e32 v4, 16, v5
	v_fmac_f32_e32 v3, v4, v1
	s_mov_b32 s3, 0x7f800000
	v_and_b32_e32 v1, 0x7f800000, v3
	v_cmp_ne_u32_e64 s[4:5], s3, v1
                                        ; implicit-def: $vgpr1
	s_and_saveexec_b64 s[6:7], s[4:5]
	s_xor_b64 s[4:5], exec, s[6:7]
; %bb.507:
	v_bfe_u32 v1, v3, 16, 1
	s_movk_i32 s3, 0x7fff
	v_add3_u32 v1, v3, v1, s3
                                        ; implicit-def: $vgpr3
; %bb.508:
	s_andn2_saveexec_b64 s[6:7], s[4:5]
; %bb.509:
	v_mov_b32_e32 v1, 0
	v_or_b32_e32 v4, 0x10000, v3
	v_cmp_eq_u32_sdwa s[4:5], v3, v1 src0_sel:WORD_0 src1_sel:DWORD
	s_nop 1
	v_cndmask_b32_e64 v1, v4, v3, s[4:5]
; %bb.510:
	s_or_b64 exec, exec, s[6:7]
	v_and_b32_e32 v2, 0xffff0000, v2
	v_and_b32_e32 v3, 0xffff0000, v5
	v_fmac_f32_e32 v2, v3, v66
	s_mov_b32 s3, 0x7f800000
	v_and_b32_e32 v3, 0x7f800000, v2
	v_cmp_ne_u32_e64 s[4:5], s3, v3
                                        ; implicit-def: $vgpr3
	s_and_saveexec_b64 s[6:7], s[4:5]
	s_xor_b64 s[4:5], exec, s[6:7]
; %bb.511:
	v_bfe_u32 v3, v2, 16, 1
	s_movk_i32 s3, 0x7fff
	v_add3_u32 v3, v2, v3, s3
                                        ; implicit-def: $vgpr2
; %bb.512:
	s_andn2_saveexec_b64 s[6:7], s[4:5]
; %bb.513:
	v_mov_b32_e32 v3, 0
	v_or_b32_e32 v4, 0x10000, v2
	v_cmp_eq_u32_sdwa s[4:5], v2, v3 src0_sel:WORD_0 src1_sel:DWORD
	s_nop 1
	v_cndmask_b32_e64 v3, v4, v2, s[4:5]
; %bb.514:
	s_or_b64 exec, exec, s[6:7]
	v_and_b32_e32 v2, 0xffff0000, v6
	v_and_b32_e32 v4, 0xffff0000, v7
	v_add_f32_e32 v2, v2, v4
	v_and_b32_e32 v4, 0xffff0000, v10
	v_and_b32_e32 v5, 0xffff0000, v11
	v_add_f32_e32 v4, v4, v5
	v_cndmask_b32_e32 v5, 0, v4, vcc
	v_and_b32_e32 v4, 0xffff0000, v14
	v_and_b32_e32 v6, 0xffff0000, v15
	v_add_f32_e32 v4, v4, v6
	v_and_b32_e32 v6, 0xffff0000, v18
	v_and_b32_e32 v7, 0xffff0000, v19
	v_add_f32_e32 v6, v6, v7
	v_cndmask_b32_e32 v7, 0, v6, vcc
	;; [unrolled: 7-line block ×3, first 2 shown]
	v_and_b32_e32 v8, 0xffff0000, v30
	v_and_b32_e32 v9, 0xffff0000, v31
	v_add_f32_e32 v8, v8, v9
	v_cndmask_b32_e32 v10, 0, v8, vcc
	v_and_b32_e32 v8, 0xffff0000, v34
	v_and_b32_e32 v9, 0xffff0000, v35
	v_add_f32_e32 v8, v8, v9
	v_cndmask_b32_e32 v17, 0, v8, vcc
	;; [unrolled: 4-line block ×9, first 2 shown]
	v_and_b32_e32 v8, 0xffff0000, v1
	v_mbcnt_lo_u32_b32 v1, -1, 0
	v_and_b32_e32 v9, 0xffff0000, v3
	v_mbcnt_hi_u32_b32 v22, -1, v1
	v_mov_b32_e32 v12, v9
	v_and_b32_e32 v1, 64, v22
	v_pk_add_f32 v[8:9], v[12:13], v[8:9] op_sel_hi:[0,1]
	v_add_u32_e32 v23, 64, v1
	v_xor_b32_e32 v1, 32, v22
	v_cndmask_b32_e32 v2, 0, v2, vcc
	v_cndmask_b32_e32 v4, 0, v4, vcc
	;; [unrolled: 1-line block ×4, first 2 shown]
	v_cmp_lt_i32_e32 vcc, v1, v23
	v_xor_b32_e32 v34, 8, v22
	v_xor_b32_e32 v35, 4, v22
	v_cndmask_b32_e32 v1, v22, v1, vcc
	v_lshlrev_b32_e32 v1, 2, v1
	ds_bpermute_b32 v30, v1, v24
	ds_bpermute_b32 v31, v1, v25
	;; [unrolled: 1-line block ×16, first 2 shown]
	v_xor_b32_e32 v1, 16, v22
	v_cmp_lt_i32_e32 vcc, v1, v23
	s_waitcnt lgkmcnt(14)
	v_pk_add_f32 v[24:25], v[24:25], v[30:31]
	s_waitcnt lgkmcnt(12)
	v_pk_add_f32 v[26:27], v[26:27], v[28:29]
	v_cndmask_b32_e32 v1, v22, v1, vcc
	v_lshlrev_b32_e32 v1, 2, v1
	ds_bpermute_b32 v30, v1, v24
	ds_bpermute_b32 v31, v1, v25
	;; [unrolled: 1-line block ×4, first 2 shown]
	v_cmp_lt_i32_e32 vcc, v34, v23
	s_waitcnt lgkmcnt(14)
	v_pk_add_f32 v[20:21], v[20:21], v[32:33]
	s_waitcnt lgkmcnt(2)
	v_pk_add_f32 v[24:25], v[24:25], v[30:31]
	v_cndmask_b32_e32 v34, v22, v34, vcc
	v_lshlrev_b32_e32 v34, 2, v34
	s_waitcnt lgkmcnt(0)
	v_pk_add_f32 v[26:27], v[26:27], v[28:29]
	ds_bpermute_b32 v30, v34, v24
	ds_bpermute_b32 v31, v34, v25
	;; [unrolled: 1-line block ×6, first 2 shown]
	v_cmp_lt_i32_e32 vcc, v35, v23
	s_waitcnt lgkmcnt(4)
	v_pk_add_f32 v[24:25], v[24:25], v[30:31]
	v_pk_add_f32 v[16:17], v[16:17], v[38:39]
	v_cndmask_b32_e32 v35, v22, v35, vcc
	v_lshlrev_b32_e32 v35, 2, v35
	s_waitcnt lgkmcnt(2)
	v_pk_add_f32 v[26:27], v[26:27], v[28:29]
	ds_bpermute_b32 v30, v35, v24
	ds_bpermute_b32 v31, v35, v25
	s_waitcnt lgkmcnt(2)
	v_pk_add_f32 v[20:21], v[20:21], v[32:33]
	ds_bpermute_b32 v32, v1, v16
	ds_bpermute_b32 v33, v1, v17
	;; [unrolled: 1-line block ×4, first 2 shown]
	v_xor_b32_e32 v36, 2, v22
	v_pk_add_f32 v[6:7], v[6:7], v[14:15]
	v_cmp_lt_i32_e32 vcc, v36, v23
	ds_bpermute_b32 v14, v1, v6
	ds_bpermute_b32 v15, v1, v7
	v_cndmask_b32_e32 v36, v22, v36, vcc
	v_lshlrev_b32_e32 v36, 2, v36
	s_waitcnt lgkmcnt(6)
	v_pk_add_f32 v[24:25], v[24:25], v[30:31]
	s_waitcnt lgkmcnt(4)
	v_pk_add_f32 v[16:17], v[16:17], v[32:33]
	v_pk_add_f32 v[42:43], v[10:11], v[18:19]
	;; [unrolled: 1-line block ×4, first 2 shown]
	s_waitcnt lgkmcnt(2)
	v_pk_add_f32 v[26:27], v[26:27], v[28:29]
	ds_bpermute_b32 v30, v34, v20
	ds_bpermute_b32 v31, v34, v21
	;; [unrolled: 1-line block ×14, first 2 shown]
	s_waitcnt lgkmcnt(14)
	v_pk_add_f32 v[6:7], v[6:7], v[14:15]
	ds_bpermute_b32 v14, v34, v6
	ds_bpermute_b32 v15, v34, v7
	s_waitcnt lgkmcnt(14)
	v_pk_add_f32 v[20:21], v[20:21], v[30:31]
	s_waitcnt lgkmcnt(11)
	v_pk_add_f32 v[32:33], v[16:17], v[32:33]
	;; [unrolled: 2-line block ×6, first 2 shown]
	ds_bpermute_b32 v30, v35, v20
	ds_bpermute_b32 v31, v35, v21
	s_waitcnt lgkmcnt(4)
	v_pk_add_f32 v[18:19], v[26:27], v[28:29]
	ds_bpermute_b32 v26, v34, v24
	ds_bpermute_b32 v27, v34, v25
	;; [unrolled: 1-line block ×6, first 2 shown]
	s_waitcnt lgkmcnt(8)
	v_pk_add_f32 v[6:7], v[6:7], v[14:15]
	ds_bpermute_b32 v14, v35, v6
	ds_bpermute_b32 v15, v35, v7
	s_waitcnt lgkmcnt(8)
	v_pk_add_f32 v[20:21], v[20:21], v[30:31]
	s_waitcnt lgkmcnt(6)
	v_pk_add_f32 v[24:25], v[24:25], v[26:27]
	;; [unrolled: 2-line block ×4, first 2 shown]
	ds_bpermute_b32 v30, v36, v20
	ds_bpermute_b32 v31, v36, v21
	;; [unrolled: 1-line block ×10, first 2 shown]
	s_waitcnt lgkmcnt(10)
	v_pk_add_f32 v[6:7], v[6:7], v[14:15]
	ds_bpermute_b32 v14, v36, v6
	ds_bpermute_b32 v15, v36, v7
	s_waitcnt lgkmcnt(10)
	v_pk_add_f32 v[10:11], v[20:21], v[30:31]
	s_waitcnt lgkmcnt(8)
	v_pk_add_f32 v[20:21], v[32:33], v[40:41]
	s_waitcnt lgkmcnt(6)
	v_pk_add_f32 v[24:25], v[24:25], v[26:27]
	s_waitcnt lgkmcnt(4)
	v_pk_add_f32 v[30:31], v[4:5], v[12:13]
	s_waitcnt lgkmcnt(2)
	v_pk_add_f32 v[38:39], v[2:3], v[8:9]
	ds_bpermute_b32 v28, v36, v20
	ds_bpermute_b32 v29, v36, v21
	;; [unrolled: 1-line block ×8, first 2 shown]
	s_waitcnt lgkmcnt(8)
	v_pk_add_f32 v[4:5], v[6:7], v[14:15]
	v_xor_b32_e32 v14, 1, v22
	v_cmp_lt_i32_e32 vcc, v14, v23
	s_waitcnt lgkmcnt(6)
	v_pk_add_f32 v[12:13], v[20:21], v[28:29]
	s_waitcnt lgkmcnt(4)
	v_pk_add_f32 v[8:9], v[24:25], v[26:27]
	v_cndmask_b32_e32 v14, v22, v14, vcc
	s_waitcnt lgkmcnt(2)
	v_pk_add_f32 v[2:3], v[30:31], v[32:33]
	s_waitcnt lgkmcnt(0)
	v_pk_add_f32 v[6:7], v[38:39], v[40:41]
	v_lshlrev_b32_e32 v37, 2, v14
	ds_bpermute_b32 v32, v37, v18
	ds_bpermute_b32 v33, v37, v19
	ds_bpermute_b32 v30, v37, v16
	ds_bpermute_b32 v31, v37, v17
	ds_bpermute_b32 v28, v37, v10
	ds_bpermute_b32 v29, v37, v11
	ds_bpermute_b32 v26, v37, v12
	ds_bpermute_b32 v27, v37, v13
	ds_bpermute_b32 v24, v37, v8
	ds_bpermute_b32 v25, v37, v9
	ds_bpermute_b32 v20, v37, v4
	ds_bpermute_b32 v21, v37, v5
	ds_bpermute_b32 v14, v37, v2
	ds_bpermute_b32 v15, v37, v3
	ds_bpermute_b32 v22, v37, v6
	ds_bpermute_b32 v23, v37, v7
	v_and_b32_e32 v38, 63, v0
	v_cmp_gt_u32_e32 vcc, 16, v38
	s_and_saveexec_b64 s[4:5], vcc
	s_cbranch_execz .LBB7_516
; %bb.515:
	s_waitcnt lgkmcnt(14)
	v_pk_add_f32 v[18:19], v[18:19], v[32:33]
	v_cmp_eq_u32_e32 vcc, 1, v38
	s_waitcnt lgkmcnt(12)
	v_pk_add_f32 v[16:17], v[16:17], v[30:31]
	s_waitcnt lgkmcnt(2)
	v_pk_add_f32 v[2:3], v[2:3], v[14:15]
	v_cndmask_b32_e32 v15, v18, v19, vcc
	v_cmp_eq_u32_e32 vcc, 2, v38
	v_pk_add_f32 v[10:11], v[10:11], v[28:29]
	v_pk_add_f32 v[12:13], v[12:13], v[26:27]
	v_cndmask_b32_e32 v15, v15, v16, vcc
	v_cmp_eq_u32_e32 vcc, 3, v38
	v_pk_add_f32 v[8:9], v[8:9], v[24:25]
	v_pk_add_f32 v[4:5], v[4:5], v[20:21]
	v_cndmask_b32_e32 v15, v15, v17, vcc
	v_cmp_eq_u32_e32 vcc, 4, v38
	s_waitcnt lgkmcnt(0)
	v_pk_add_f32 v[6:7], v[6:7], v[22:23]
	v_lshrrev_b32_e32 v14, 4, v0
	v_cndmask_b32_e32 v10, v15, v10, vcc
	v_cmp_eq_u32_e32 vcc, 5, v38
	v_and_b32_e32 v14, 60, v14
	v_lshl_or_b32 v14, v38, 8, v14
	v_cndmask_b32_e32 v10, v10, v11, vcc
	v_cmp_eq_u32_e32 vcc, 6, v38
	s_nop 1
	v_cndmask_b32_e32 v10, v10, v12, vcc
	v_cmp_eq_u32_e32 vcc, 7, v38
	s_nop 1
	;; [unrolled: 3-line block ×10, first 2 shown]
	v_cndmask_b32_e32 v2, v2, v7, vcc
	ds_write_b32 v14, v2
.LBB7_516:
	s_or_b64 exec, exec, s[4:5]
	s_movk_i32 s3, 0x100
	v_cmp_gt_u32_e32 vcc, s3, v0
	s_waitcnt lgkmcnt(0)
	s_barrier
	s_and_saveexec_b64 s[4:5], vcc
	s_cbranch_execz .LBB7_529
; %bb.517:
	s_load_dword s0, s[0:1], 0x2c
	v_and_b32_e32 v3, 15, v0
	v_mov_b32_e32 v2, 0
	s_waitcnt lgkmcnt(0)
	s_and_b32 s0, 0xffff, s0
	s_lshr_b32 s0, s0, 6
	v_cmp_gt_u32_e32 vcc, s0, v3
	s_and_saveexec_b64 s[0:1], vcc
	s_cbranch_execz .LBB7_519
; %bb.518:
	v_lshlrev_b32_e32 v2, 2, v3
	v_lshlrev_b32_e32 v3, 4, v0
	s_movk_i32 s3, 0x3f00
	v_and_or_b32 v2, v3, s3, v2
	ds_read_b32 v2, v2
.LBB7_519:
	s_or_b64 exec, exec, s[0:1]
	s_waitcnt lgkmcnt(0)
	ds_bpermute_b32 v3, v34, v2
	s_waitcnt lgkmcnt(0)
	v_add_f32_e32 v2, v2, v3
	ds_bpermute_b32 v3, v35, v2
	s_waitcnt lgkmcnt(0)
	v_add_f32_e32 v2, v2, v3
	;; [unrolled: 3-line block ×4, first 2 shown]
	ds_bpermute_b32 v1, v1, v3
	v_and_b32_e32 v2, 31, v0
	v_cmp_eq_u32_e32 vcc, 0, v2
	s_and_b64 exec, exec, vcc
	s_cbranch_execz .LBB7_529
; %bb.520:
	s_mov_b32 s0, 0x7f800000
	v_and_b32_e32 v2, 0x7f800000, v3
	v_cmp_ne_u32_e32 vcc, s0, v2
                                        ; implicit-def: $vgpr2
	s_and_saveexec_b64 s[0:1], vcc
	s_xor_b64 s[0:1], exec, s[0:1]
; %bb.521:
	v_bfe_u32 v2, v3, 16, 1
	s_movk_i32 s3, 0x7fff
	v_add3_u32 v2, v3, v2, s3
                                        ; implicit-def: $vgpr3
; %bb.522:
	s_andn2_saveexec_b64 s[0:1], s[0:1]
; %bb.523:
	v_mov_b32_e32 v2, 0
	v_or_b32_e32 v4, 0x10000, v3
	v_cmp_eq_u32_sdwa vcc, v3, v2 src0_sel:WORD_0 src1_sel:DWORD
	s_nop 1
	v_cndmask_b32_e32 v2, v4, v3, vcc
; %bb.524:
	s_or_b64 exec, exec, s[0:1]
	s_mov_b32 s0, 0x7f800000
	s_waitcnt lgkmcnt(0)
	v_and_b32_e32 v3, 0x7f800000, v1
	v_cmp_ne_u32_e32 vcc, s0, v3
                                        ; implicit-def: $vgpr3
	s_and_saveexec_b64 s[0:1], vcc
	s_xor_b64 s[0:1], exec, s[0:1]
; %bb.525:
	v_bfe_u32 v3, v1, 16, 1
	s_movk_i32 s3, 0x7fff
	v_add3_u32 v3, v1, v3, s3
                                        ; implicit-def: $vgpr1
; %bb.526:
	s_andn2_saveexec_b64 s[0:1], s[0:1]
; %bb.527:
	v_mov_b32_e32 v3, 0
	v_or_b32_e32 v4, 0x10000, v1
	v_cmp_eq_u32_sdwa vcc, v1, v3 src0_sel:WORD_0 src1_sel:DWORD
	s_nop 1
	v_cndmask_b32_e32 v3, v4, v1, vcc
; %bb.528:
	s_or_b64 exec, exec, s[0:1]
	s_lshl_b32 s0, s2, 3
	s_and_b32 s0, s0, 0x7ffffff8
	v_lshrrev_b32_e32 v0, 5, v0
	v_mov_b32_e32 v4, s8
	v_mov_b32_e32 v5, s9
	v_or_b32_e32 v0, s0, v0
	v_mov_b32_e32 v1, 0
	s_mov_b32 s0, 0x7060302
	v_lshl_add_u64 v[0:1], v[0:1], 2, v[4:5]
	v_perm_b32 v2, v3, v2, s0
	global_store_dword v[0:1], v2, off
.LBB7_529:
	s_endpgm
	.section	.rodata,"a",@progbits
	.p2align	6, 0x0
	.amdhsa_kernel _Z14LLGemm1_kernelIN3c108BFloat16ELi16EEvPKT_S4_PS2_i
		.amdhsa_group_segment_fixed_size 4096
		.amdhsa_private_segment_fixed_size 0
		.amdhsa_kernarg_size 288
		.amdhsa_user_sgpr_count 2
		.amdhsa_user_sgpr_dispatch_ptr 0
		.amdhsa_user_sgpr_queue_ptr 0
		.amdhsa_user_sgpr_kernarg_segment_ptr 1
		.amdhsa_user_sgpr_dispatch_id 0
		.amdhsa_user_sgpr_kernarg_preload_length 0
		.amdhsa_user_sgpr_kernarg_preload_offset 0
		.amdhsa_user_sgpr_private_segment_size 0
		.amdhsa_uses_dynamic_stack 0
		.amdhsa_enable_private_segment 0
		.amdhsa_system_sgpr_workgroup_id_x 1
		.amdhsa_system_sgpr_workgroup_id_y 0
		.amdhsa_system_sgpr_workgroup_id_z 0
		.amdhsa_system_sgpr_workgroup_info 0
		.amdhsa_system_vgpr_workitem_id 0
		.amdhsa_next_free_vgpr 76
		.amdhsa_next_free_sgpr 14
		.amdhsa_accum_offset 76
		.amdhsa_reserve_vcc 1
		.amdhsa_float_round_mode_32 0
		.amdhsa_float_round_mode_16_64 0
		.amdhsa_float_denorm_mode_32 3
		.amdhsa_float_denorm_mode_16_64 3
		.amdhsa_dx10_clamp 1
		.amdhsa_ieee_mode 1
		.amdhsa_fp16_overflow 0
		.amdhsa_tg_split 0
		.amdhsa_exception_fp_ieee_invalid_op 0
		.amdhsa_exception_fp_denorm_src 0
		.amdhsa_exception_fp_ieee_div_zero 0
		.amdhsa_exception_fp_ieee_overflow 0
		.amdhsa_exception_fp_ieee_underflow 0
		.amdhsa_exception_fp_ieee_inexact 0
		.amdhsa_exception_int_div_zero 0
	.end_amdhsa_kernel
	.section	.text._Z14LLGemm1_kernelIN3c108BFloat16ELi16EEvPKT_S4_PS2_i,"axG",@progbits,_Z14LLGemm1_kernelIN3c108BFloat16ELi16EEvPKT_S4_PS2_i,comdat
.Lfunc_end7:
	.size	_Z14LLGemm1_kernelIN3c108BFloat16ELi16EEvPKT_S4_PS2_i, .Lfunc_end7-_Z14LLGemm1_kernelIN3c108BFloat16ELi16EEvPKT_S4_PS2_i
                                        ; -- End function
	.section	.AMDGPU.csdata,"",@progbits
; Kernel info:
; codeLenInByte = 16880
; NumSgprs: 20
; NumVgprs: 76
; NumAgprs: 0
; TotalNumVgprs: 76
; ScratchSize: 0
; MemoryBound: 0
; FloatMode: 240
; IeeeMode: 1
; LDSByteSize: 4096 bytes/workgroup (compile time only)
; SGPRBlocks: 2
; VGPRBlocks: 9
; NumSGPRsForWavesPerEU: 20
; NumVGPRsForWavesPerEU: 76
; AccumOffset: 76
; Occupancy: 6
; WaveLimiterHint : 0
; COMPUTE_PGM_RSRC2:SCRATCH_EN: 0
; COMPUTE_PGM_RSRC2:USER_SGPR: 2
; COMPUTE_PGM_RSRC2:TRAP_HANDLER: 0
; COMPUTE_PGM_RSRC2:TGID_X_EN: 1
; COMPUTE_PGM_RSRC2:TGID_Y_EN: 0
; COMPUTE_PGM_RSRC2:TGID_Z_EN: 0
; COMPUTE_PGM_RSRC2:TIDIG_COMP_CNT: 0
; COMPUTE_PGM_RSRC3_GFX90A:ACCUM_OFFSET: 18
; COMPUTE_PGM_RSRC3_GFX90A:TG_SPLIT: 0
	.section	.text._Z16wvSplitK_hf_sml_I6__halfLi64ELi2ELi16ELi8ELi2ELi1EEviiPKT_S3_PS1_ii,"axG",@progbits,_Z16wvSplitK_hf_sml_I6__halfLi64ELi2ELi16ELi8ELi2ELi1EEviiPKT_S3_PS1_ii,comdat
	.protected	_Z16wvSplitK_hf_sml_I6__halfLi64ELi2ELi16ELi8ELi2ELi1EEviiPKT_S3_PS1_ii ; -- Begin function _Z16wvSplitK_hf_sml_I6__halfLi64ELi2ELi16ELi8ELi2ELi1EEviiPKT_S3_PS1_ii
	.globl	_Z16wvSplitK_hf_sml_I6__halfLi64ELi2ELi16ELi8ELi2ELi1EEviiPKT_S3_PS1_ii
	.p2align	8
	.type	_Z16wvSplitK_hf_sml_I6__halfLi64ELi2ELi16ELi8ELi2ELi1EEviiPKT_S3_PS1_ii,@function
_Z16wvSplitK_hf_sml_I6__halfLi64ELi2ELi16ELi8ELi2ELi1EEviiPKT_S3_PS1_ii: ; @_Z16wvSplitK_hf_sml_I6__halfLi64ELi2ELi16ELi8ELi2ELi1EEviiPKT_S3_PS1_ii
; %bb.0:
	s_load_dwordx2 s[6:7], s[0:1], 0x0
	v_and_b32_e32 v2, 0x3ff, v0
	v_bfe_u32 v3, v0, 10, 10
	v_lshlrev_b32_e32 v28, 3, v2
	s_mov_b32 s3, 0
	s_waitcnt lgkmcnt(0)
	s_cmp_lg_u32 s6, 0
	s_cselect_b64 s[4:5], -1, 0
	s_cmp_eq_u32 s6, 0
	s_cbranch_scc1 .LBB8_6
; %bb.1:
	s_load_dwordx2 s[8:9], s[0:1], 0x10
	v_lshlrev_b32_e32 v0, 4, v2
	s_min_i32 s16, s6, 0x8000
	v_lshl_add_u32 v4, v3, 10, v0
	v_lshl_add_u32 v5, v3, 9, v28
	s_mov_b64 s[10:11], 0
	v_mov_b32_e32 v1, 0
                                        ; implicit-def: $sgpr12_sgpr13
	s_branch .LBB8_3
.LBB8_2:                                ;   in Loop: Header=BB8_3 Depth=1
	s_or_b64 exec, exec, s[14:15]
	s_and_b64 s[14:15], exec, s[12:13]
	s_or_b64 s[10:11], s[14:15], s[10:11]
	s_andn2_b64 exec, exec, s[10:11]
	s_cbranch_execz .LBB8_5
.LBB8_3:                                ; =>This Inner Loop Header: Depth=1
	v_add_u32_e32 v0, s3, v5
	v_cmp_gt_u32_e32 vcc, s16, v0
	s_or_b64 s[12:13], s[12:13], exec
	s_and_saveexec_b64 s[14:15], vcc
	s_cbranch_execz .LBB8_2
; %bb.4:                                ;   in Loop: Header=BB8_3 Depth=1
	s_waitcnt lgkmcnt(0)
	v_lshl_add_u64 v[6:7], v[0:1], 1, s[8:9]
	global_load_dwordx4 v[6:9], v[6:7], off
	s_addk_i32 s3, 0x2000
	s_cmp_ge_u32 s3, s16
	s_cselect_b64 s[18:19], -1, 0
	s_andn2_b64 s[12:13], s[12:13], exec
	s_and_b64 s[18:19], s[18:19], exec
	s_or_b64 s[12:13], s[12:13], s[18:19]
	s_waitcnt vmcnt(0)
	ds_write_b128 v4, v[6:9]
	v_add_u32_e32 v4, 0x4000, v4
	s_branch .LBB8_2
.LBB8_5:
	s_or_b64 exec, exec, s[10:11]
.LBB8_6:
	s_load_dwordx2 s[12:13], s[0:1], 0x20
	s_waitcnt lgkmcnt(0)
	s_barrier
	v_cmp_gt_u32_e32 vcc, s12, v3
	s_and_saveexec_b64 s[8:9], vcc
	s_cbranch_execz .LBB8_28
; %bb.7:
	s_mul_i32 s2, s2, s12
	v_add_u32_e32 v0, s2, v3
	v_lshlrev_b32_e32 v24, 1, v0
	v_cmp_gt_u32_e32 vcc, s7, v24
	s_and_b64 exec, exec, vcc
	s_cbranch_execz .LBB8_28
; %bb.8:
	s_load_dwordx2 s[8:9], s[0:1], 0x8
	s_load_dwordx2 s[10:11], s[0:1], 0x18
	s_mul_i32 s2, s12, s13
	v_mul_lo_u32 v0, s6, v0
	s_lshl_b32 s20, s2, 1
	v_lshlrev_b32_e32 v30, 1, v0
	s_mul_i32 s2, s2, s6
	v_cndmask_b32_e64 v0, 0, 1, s[4:5]
	v_cmp_eq_u32_e64 s[0:1], 63, v2
	s_ashr_i32 s13, s6, 31
	s_mov_b32 s12, s6
	v_lshlrev_b32_e32 v29, 4, v2
	s_lshl_b32 s21, s2, 1
	s_mov_b64 s[14:15], 0
	v_cmp_ne_u32_e64 s[2:3], 1, v0
	v_mov_b32_e32 v27, 0
                                        ; implicit-def: $vgpr8_vgpr9_vgpr10_vgpr11
                                        ; implicit-def: $vgpr12_vgpr13_vgpr14_vgpr15
                                        ; implicit-def: $vgpr16_vgpr17_vgpr18_vgpr19
                                        ; implicit-def: $vgpr20_vgpr21_vgpr22_vgpr23
                                        ; implicit-def: $vgpr2_vgpr3
                                        ; implicit-def: $vgpr6_vgpr7
	s_branch .LBB8_10
.LBB8_9:                                ;   in Loop: Header=BB8_10 Depth=1
	s_or_b64 exec, exec, s[4:5]
	v_add_u32_e32 v24, s20, v24
	v_cmp_le_u32_e32 vcc, s7, v24
	s_or_b64 s[14:15], vcc, s[14:15]
	v_add_u32_e32 v30, s21, v30
	s_andn2_b64 exec, exec, s[14:15]
	s_cbranch_execz .LBB8_28
.LBB8_10:                               ; =>This Loop Header: Depth=1
                                        ;     Child Loop BB8_14 Depth 2
	s_and_b64 vcc, exec, s[2:3]
	s_mov_b32 s22, 0
	s_cbranch_vccnz .LBB8_25
; %bb.11:                               ;   in Loop: Header=BB8_10 Depth=1
	v_add_u32_e32 v32, v28, v30
	v_mov_b32_e32 v25, 0
	v_mov_b32_e32 v33, v29
	;; [unrolled: 1-line block ×3, first 2 shown]
	s_branch .LBB8_14
.LBB8_12:                               ;   in Loop: Header=BB8_14 Depth=2
	s_or_b64 exec, exec, s[16:17]
.LBB8_13:                               ;   in Loop: Header=BB8_14 Depth=2
	s_or_b64 exec, exec, s[4:5]
	s_addk_i32 s22, 0x400
	s_cmp_ge_u32 s22, s6
	v_add_u32_e32 v33, 0x800, v33
	s_cbranch_scc1 .LBB8_26
.LBB8_14:                               ;   Parent Loop BB8_10 Depth=1
                                        ; =>  This Inner Loop Header: Depth=2
	v_add_u32_e32 v26, s22, v28
	v_cmp_gt_u32_e32 vcc, s6, v26
	v_add_u32_e32 v34, 0x200, v26
	s_and_saveexec_b64 s[16:17], vcc
	s_cbranch_execnz .LBB8_17
; %bb.15:                               ;   in Loop: Header=BB8_14 Depth=2
	s_or_b64 exec, exec, s[16:17]
	s_and_saveexec_b64 s[16:17], vcc
	s_cbranch_execnz .LBB8_20
.LBB8_16:                               ;   in Loop: Header=BB8_14 Depth=2
	s_or_b64 exec, exec, s[16:17]
	s_and_saveexec_b64 s[4:5], vcc
	s_cbranch_execz .LBB8_13
	s_branch .LBB8_23
.LBB8_17:                               ;   in Loop: Header=BB8_14 Depth=2
	v_add_u32_e32 v26, s22, v32
	s_waitcnt lgkmcnt(0)
	v_lshl_add_u64 v[36:37], v[26:27], 1, s[8:9]
	v_lshl_add_u64 v[38:39], s[12:13], 1, v[36:37]
	global_load_dwordx4 v[20:23], v[36:37], off nt
	global_load_dwordx4 v[12:15], v[38:39], off nt
	v_cmp_gt_u32_e64 s[4:5], s6, v34
	s_and_saveexec_b64 s[18:19], s[4:5]
	s_cbranch_execz .LBB8_19
; %bb.18:                               ;   in Loop: Header=BB8_14 Depth=2
	v_add_u32_e32 v26, 0x200, v26
	v_lshl_add_u64 v[36:37], v[26:27], 1, s[8:9]
	v_lshl_add_u64 v[38:39], s[12:13], 1, v[36:37]
	global_load_dwordx4 v[16:19], v[36:37], off nt
	global_load_dwordx4 v[8:11], v[38:39], off nt
.LBB8_19:                               ;   in Loop: Header=BB8_14 Depth=2
	s_or_b64 exec, exec, s[18:19]
	s_or_b64 exec, exec, s[16:17]
	s_and_saveexec_b64 s[16:17], vcc
	s_cbranch_execz .LBB8_16
.LBB8_20:                               ;   in Loop: Header=BB8_14 Depth=2
	s_waitcnt lgkmcnt(0)
	ds_read_b128 v[4:7], v33
	v_cmp_gt_u32_e64 s[4:5], s6, v34
	s_and_saveexec_b64 s[18:19], s[4:5]
	s_cbranch_execz .LBB8_22
; %bb.21:                               ;   in Loop: Header=BB8_14 Depth=2
	ds_read_b128 v[0:3], v33 offset:1024
.LBB8_22:                               ;   in Loop: Header=BB8_14 Depth=2
	s_or_b64 exec, exec, s[18:19]
	s_or_b64 exec, exec, s[16:17]
	s_and_saveexec_b64 s[4:5], vcc
	s_cbranch_execz .LBB8_13
.LBB8_23:                               ;   in Loop: Header=BB8_14 Depth=2
	s_waitcnt vmcnt(1) lgkmcnt(0)
	;;#ASMSTART
	v_dot2c_f32_f16 v31, v4, v20
	;;#ASMEND
	s_waitcnt vmcnt(0)
	;;#ASMSTART
	v_dot2c_f32_f16 v25, v4, v12
	;;#ASMEND
	v_cmp_gt_u32_e32 vcc, s6, v34
	;;#ASMSTART
	v_dot2c_f32_f16 v31, v5, v21
	;;#ASMEND
	;;#ASMSTART
	v_dot2c_f32_f16 v25, v5, v13
	;;#ASMEND
	s_nop 0
	;;#ASMSTART
	v_dot2c_f32_f16 v31, v6, v22
	;;#ASMEND
	;;#ASMSTART
	v_dot2c_f32_f16 v25, v6, v14
	;;#ASMEND
	s_nop 0
	;;#ASMSTART
	v_dot2c_f32_f16 v31, v7, v23
	;;#ASMEND
	;;#ASMSTART
	v_dot2c_f32_f16 v25, v7, v15
	;;#ASMEND
	s_and_saveexec_b64 s[16:17], vcc
	s_cbranch_execz .LBB8_12
; %bb.24:                               ;   in Loop: Header=BB8_14 Depth=2
	;;#ASMSTART
	v_dot2c_f32_f16 v31, v0, v16
	;;#ASMEND
	;;#ASMSTART
	v_dot2c_f32_f16 v25, v0, v8
	;;#ASMEND
	s_nop 0
	;;#ASMSTART
	v_dot2c_f32_f16 v31, v1, v17
	;;#ASMEND
	;;#ASMSTART
	v_dot2c_f32_f16 v25, v1, v9
	;;#ASMEND
	s_nop 0
	;; [unrolled: 7-line block ×3, first 2 shown]
	;;#ASMSTART
	v_dot2c_f32_f16 v31, v3, v19
	;;#ASMEND
	;;#ASMSTART
	v_dot2c_f32_f16 v25, v3, v11
	;;#ASMEND
	s_branch .LBB8_12
.LBB8_25:                               ;   in Loop: Header=BB8_10 Depth=1
	v_mov_b32_e32 v31, v27
	v_mov_b32_e32 v25, v27
.LBB8_26:                               ;   in Loop: Header=BB8_10 Depth=1
	;;#ASMSTART
	s_nop 0
	v_add_f32 v31, v31, v31 row_shr:8 bound_ctrl:0 
	;;#ASMEND
	;;#ASMSTART
	s_nop 0
	v_add_f32 v25, v25, v25 row_shr:8 bound_ctrl:0 
	;;#ASMEND
	s_nop 0
	;;#ASMSTART
	s_nop 0
	v_add_f32 v31, v31, v31 row_shr:4 bound_ctrl:0 
	;;#ASMEND
	;;#ASMSTART
	s_nop 0
	v_add_f32 v25, v25, v25 row_shr:4 bound_ctrl:0 
	;;#ASMEND
	s_nop 0
	;; [unrolled: 9-line block ×3, first 2 shown]
	;;#ASMSTART
	s_nop 0
	v_add_f32 v31, v31, v31 wave_shr:1 bound_ctrl:0
	;;#ASMEND
	;;#ASMSTART
	s_nop 0
	v_add_f32 v25, v25, v25 wave_shr:1 bound_ctrl:0
	;;#ASMEND
	s_nop 0
	;;#ASMSTART
	s_nop 0
	v_add_f32 v31, v31, v31 row_bcast:15 bound_ctrl:0
	;;#ASMEND
	;;#ASMSTART
	s_nop 0
	v_add_f32 v25, v25, v25 row_bcast:15 bound_ctrl:0
	;;#ASMEND
	s_nop 0
	;;#ASMSTART
	s_nop 0
	v_add_f32 v31, v31, v31 row_bcast:31 bound_ctrl:0
	;;#ASMEND
	;;#ASMSTART
	s_nop 0
	v_add_f32 v25, v25, v25 row_bcast:31 bound_ctrl:0
	;;#ASMEND
	s_and_saveexec_b64 s[4:5], s[0:1]
	s_cbranch_execz .LBB8_9
; %bb.27:                               ;   in Loop: Header=BB8_10 Depth=1
	v_cvt_f16_f32_e32 v26, v31
	v_cvt_f16_f32_e32 v31, v25
	v_mov_b32_e32 v25, v27
	s_waitcnt lgkmcnt(0)
	v_lshl_add_u64 v[32:33], v[24:25], 1, s[10:11]
	v_pack_b32_f16 v25, v26, v31
	global_store_dword v[32:33], v25, off
	s_branch .LBB8_9
.LBB8_28:
	s_endpgm
	.section	.rodata,"a",@progbits
	.p2align	6, 0x0
	.amdhsa_kernel _Z16wvSplitK_hf_sml_I6__halfLi64ELi2ELi16ELi8ELi2ELi1EEviiPKT_S3_PS1_ii
		.amdhsa_group_segment_fixed_size 65536
		.amdhsa_private_segment_fixed_size 0
		.amdhsa_kernarg_size 40
		.amdhsa_user_sgpr_count 2
		.amdhsa_user_sgpr_dispatch_ptr 0
		.amdhsa_user_sgpr_queue_ptr 0
		.amdhsa_user_sgpr_kernarg_segment_ptr 1
		.amdhsa_user_sgpr_dispatch_id 0
		.amdhsa_user_sgpr_kernarg_preload_length 0
		.amdhsa_user_sgpr_kernarg_preload_offset 0
		.amdhsa_user_sgpr_private_segment_size 0
		.amdhsa_uses_dynamic_stack 0
		.amdhsa_enable_private_segment 0
		.amdhsa_system_sgpr_workgroup_id_x 1
		.amdhsa_system_sgpr_workgroup_id_y 0
		.amdhsa_system_sgpr_workgroup_id_z 0
		.amdhsa_system_sgpr_workgroup_info 0
		.amdhsa_system_vgpr_workitem_id 1
		.amdhsa_next_free_vgpr 40
		.amdhsa_next_free_sgpr 23
		.amdhsa_accum_offset 40
		.amdhsa_reserve_vcc 1
		.amdhsa_float_round_mode_32 0
		.amdhsa_float_round_mode_16_64 0
		.amdhsa_float_denorm_mode_32 3
		.amdhsa_float_denorm_mode_16_64 3
		.amdhsa_dx10_clamp 1
		.amdhsa_ieee_mode 1
		.amdhsa_fp16_overflow 0
		.amdhsa_tg_split 0
		.amdhsa_exception_fp_ieee_invalid_op 0
		.amdhsa_exception_fp_denorm_src 0
		.amdhsa_exception_fp_ieee_div_zero 0
		.amdhsa_exception_fp_ieee_overflow 0
		.amdhsa_exception_fp_ieee_underflow 0
		.amdhsa_exception_fp_ieee_inexact 0
		.amdhsa_exception_int_div_zero 0
	.end_amdhsa_kernel
	.section	.text._Z16wvSplitK_hf_sml_I6__halfLi64ELi2ELi16ELi8ELi2ELi1EEviiPKT_S3_PS1_ii,"axG",@progbits,_Z16wvSplitK_hf_sml_I6__halfLi64ELi2ELi16ELi8ELi2ELi1EEviiPKT_S3_PS1_ii,comdat
.Lfunc_end8:
	.size	_Z16wvSplitK_hf_sml_I6__halfLi64ELi2ELi16ELi8ELi2ELi1EEviiPKT_S3_PS1_ii, .Lfunc_end8-_Z16wvSplitK_hf_sml_I6__halfLi64ELi2ELi16ELi8ELi2ELi1EEviiPKT_S3_PS1_ii
                                        ; -- End function
	.section	.AMDGPU.csdata,"",@progbits
; Kernel info:
; codeLenInByte = 1108
; NumSgprs: 29
; NumVgprs: 40
; NumAgprs: 0
; TotalNumVgprs: 40
; ScratchSize: 0
; MemoryBound: 0
; FloatMode: 240
; IeeeMode: 1
; LDSByteSize: 65536 bytes/workgroup (compile time only)
; SGPRBlocks: 3
; VGPRBlocks: 4
; NumSGPRsForWavesPerEU: 29
; NumVGPRsForWavesPerEU: 40
; AccumOffset: 40
; Occupancy: 4
; WaveLimiterHint : 0
; COMPUTE_PGM_RSRC2:SCRATCH_EN: 0
; COMPUTE_PGM_RSRC2:USER_SGPR: 2
; COMPUTE_PGM_RSRC2:TRAP_HANDLER: 0
; COMPUTE_PGM_RSRC2:TGID_X_EN: 1
; COMPUTE_PGM_RSRC2:TGID_Y_EN: 0
; COMPUTE_PGM_RSRC2:TGID_Z_EN: 0
; COMPUTE_PGM_RSRC2:TIDIG_COMP_CNT: 1
; COMPUTE_PGM_RSRC3_GFX90A:ACCUM_OFFSET: 9
; COMPUTE_PGM_RSRC3_GFX90A:TG_SPLIT: 0
	.section	.text._Z12wvSplitK_hf_I6__halfLi64ELi2ELi16ELi8ELi2ELi1EEviiPKT_S3_PS1_ii,"axG",@progbits,_Z12wvSplitK_hf_I6__halfLi64ELi2ELi16ELi8ELi2ELi1EEviiPKT_S3_PS1_ii,comdat
	.protected	_Z12wvSplitK_hf_I6__halfLi64ELi2ELi16ELi8ELi2ELi1EEviiPKT_S3_PS1_ii ; -- Begin function _Z12wvSplitK_hf_I6__halfLi64ELi2ELi16ELi8ELi2ELi1EEviiPKT_S3_PS1_ii
	.globl	_Z12wvSplitK_hf_I6__halfLi64ELi2ELi16ELi8ELi2ELi1EEviiPKT_S3_PS1_ii
	.p2align	8
	.type	_Z12wvSplitK_hf_I6__halfLi64ELi2ELi16ELi8ELi2ELi1EEviiPKT_S3_PS1_ii,@function
_Z12wvSplitK_hf_I6__halfLi64ELi2ELi16ELi8ELi2ELi1EEviiPKT_S3_PS1_ii: ; @_Z12wvSplitK_hf_I6__halfLi64ELi2ELi16ELi8ELi2ELi1EEviiPKT_S3_PS1_ii
; %bb.0:
	s_load_dwordx2 s[4:5], s[0:1], 0x20
	s_load_dwordx2 s[6:7], s[0:1], 0x0
	;; [unrolled: 1-line block ×3, first 2 shown]
	v_bfe_u32 v3, v0, 10, 10
	s_mov_b32 s10, 1
	s_waitcnt lgkmcnt(0)
	s_mul_i32 s2, s2, s4
	v_add_lshl_u32 v26, s2, v3, 1
	v_add_u32_e32 v1, 2, v26
	v_cmp_gt_u32_e32 vcc, s7, v26
	v_cmp_le_u32_e64 s[2:3], s7, v1
	s_mov_b32 s11, s10
	s_and_b64 s[12:13], vcc, s[2:3]
	v_mov_b64_e32 v[24:25], s[10:11]
	s_and_saveexec_b64 s[2:3], s[12:13]
	s_cbranch_execz .LBB9_6
; %bb.1:
	s_add_i32 s18, s7, -2
	v_cmp_ne_u32_e32 vcc, s18, v26
	v_mov_b64_e32 v[24:25], s[10:11]
	s_and_saveexec_b64 s[10:11], vcc
	s_cbranch_execz .LBB9_5
; %bb.2:
	v_subrev_u32_e32 v1, s18, v26
	s_mov_b32 s12, 1
	v_cmp_lt_u32_e32 vcc, 1, v1
	s_mov_b64 s[14:15], 0
	s_mov_b64 s[16:17], 0
	v_cndmask_b32_e32 v2, 1, v1, vcc
	s_mov_b32 s13, s12
.LBB9_3:                                ; =>This Inner Loop Header: Depth=1
	s_cmp_lg_u32 s16, 1
	s_cselect_b32 s13, s13, 0
	s_cmp_lg_u32 s16, 0
	s_cselect_b32 s12, s12, 0
	s_add_u32 s16, s16, 1
	s_addc_u32 s17, s17, 0
	v_cmp_eq_u32_e32 vcc, s16, v2
	s_or_b64 s[14:15], vcc, s[14:15]
	v_mov_b64_e32 v[24:25], s[12:13]
	s_andn2_b64 exec, exec, s[14:15]
	s_cbranch_execnz .LBB9_3
; %bb.4:
	s_or_b64 exec, exec, s[14:15]
	v_mov_b32_e32 v26, s18
.LBB9_5:
	s_or_b64 exec, exec, s[10:11]
.LBB9_6:
	s_or_b64 exec, exec, s[2:3]
	v_and_b32_e32 v2, 0x3ff, v0
	s_cmp_lg_u32 s6, 0
	v_lshlrev_b32_e32 v28, 3, v2
	s_mov_b32 s14, 0
	s_cselect_b64 s[18:19], -1, 0
	s_cmp_eq_u32 s6, 0
	v_lshlrev_b32_e32 v29, 4, v2
	s_cbranch_scc1 .LBB9_12
; %bb.7:
	v_lshlrev_b32_e32 v0, 4, v2
	s_min_i32 s15, s6, 0x8000
	v_lshl_add_u32 v4, v3, 10, v0
	v_lshl_add_u32 v5, v3, 9, v28
	s_mov_b64 s[2:3], 0
	v_mov_b32_e32 v1, 0
                                        ; implicit-def: $sgpr10_sgpr11
	s_branch .LBB9_9
.LBB9_8:                                ;   in Loop: Header=BB9_9 Depth=1
	s_or_b64 exec, exec, s[12:13]
	s_and_b64 s[12:13], exec, s[10:11]
	s_or_b64 s[2:3], s[12:13], s[2:3]
	s_andn2_b64 exec, exec, s[2:3]
	s_cbranch_execz .LBB9_11
.LBB9_9:                                ; =>This Inner Loop Header: Depth=1
	v_add_u32_e32 v0, s14, v5
	v_cmp_gt_u32_e32 vcc, s15, v0
	s_or_b64 s[10:11], s[10:11], exec
	s_and_saveexec_b64 s[12:13], vcc
	s_cbranch_execz .LBB9_8
; %bb.10:                               ;   in Loop: Header=BB9_9 Depth=1
	v_lshl_add_u64 v[6:7], v[0:1], 1, s[8:9]
	global_load_dwordx4 v[6:9], v[6:7], off
	s_addk_i32 s14, 0x2000
	s_cmp_ge_u32 s14, s15
	s_cselect_b64 s[16:17], -1, 0
	s_andn2_b64 s[10:11], s[10:11], exec
	s_and_b64 s[16:17], s[16:17], exec
	s_or_b64 s[10:11], s[10:11], s[16:17]
	s_waitcnt vmcnt(0)
	ds_write_b128 v4, v[6:9]
	v_add_u32_e32 v4, 0x4000, v4
	s_branch .LBB9_8
.LBB9_11:
	s_or_b64 exec, exec, s[2:3]
.LBB9_12:
	v_cmp_gt_u32_e32 vcc, s4, v3
	v_cmp_gt_u32_e64 s[2:3], s7, v26
	s_and_b64 s[2:3], vcc, s[2:3]
	s_waitcnt lgkmcnt(0)
	s_barrier
	s_and_saveexec_b64 s[10:11], s[2:3]
	s_cbranch_execz .LBB9_50
; %bb.13:
	s_load_dwordx2 s[10:11], s[0:1], 0x8
	s_load_dwordx2 s[12:13], s[0:1], 0x18
	s_mul_i32 s2, s4, s5
	v_cndmask_b32_e64 v0, 0, 1, s[18:19]
	v_cmp_eq_u32_e64 s[0:1], 63, v2
	s_lshl_b32 s26, s2, 1
	s_add_i32 s27, s7, -2
	s_ashr_i32 s15, s6, 31
	s_mov_b32 s14, s6
	s_mov_b64 s[16:17], 0
	v_cmp_ne_u32_e64 s[2:3], 1, v0
	v_mov_b32_e32 v31, 0
	s_movk_i32 s28, 0x7fff
                                        ; implicit-def: $vgpr0_vgpr1_vgpr2_vgpr3
                                        ; implicit-def: $vgpr4_vgpr5_vgpr6_vgpr7
                                        ; implicit-def: $vgpr8_vgpr9_vgpr10_vgpr11
                                        ; implicit-def: $vgpr12_vgpr13_vgpr14_vgpr15
                                        ; implicit-def: $vgpr18_vgpr19
                                        ; implicit-def: $vgpr22_vgpr23
	s_branch .LBB9_16
.LBB9_14:                               ;   in Loop: Header=BB9_16 Depth=1
	s_or_b64 exec, exec, s[20:21]
	v_mov_b32_e32 v26, s27
.LBB9_15:                               ;   in Loop: Header=BB9_16 Depth=1
	s_or_b64 exec, exec, s[18:19]
	v_cmp_le_u32_e32 vcc, s7, v26
	s_or_b64 s[16:17], vcc, s[16:17]
	s_andn2_b64 exec, exec, s[16:17]
	s_cbranch_execz .LBB9_50
.LBB9_16:                               ; =>This Loop Header: Depth=1
                                        ;     Child Loop BB9_20 Depth 2
                                        ;     Child Loop BB9_48 Depth 2
	s_and_b64 vcc, exec, s[2:3]
	s_mov_b32 s22, 0
	s_cbranch_vccnz .LBB9_39
; %bb.17:                               ;   in Loop: Header=BB9_16 Depth=1
	v_mad_u64_u32 v[32:33], s[4:5], v26, s6, v[28:29]
	v_mov_b32_e32 v33, 0
	v_mov_b32_e32 v38, v29
	;; [unrolled: 1-line block ×3, first 2 shown]
	s_branch .LBB9_20
.LBB9_18:                               ;   in Loop: Header=BB9_20 Depth=2
	s_or_b64 exec, exec, s[18:19]
.LBB9_19:                               ;   in Loop: Header=BB9_20 Depth=2
	s_or_b64 exec, exec, s[4:5]
	s_addk_i32 s22, 0x400
	s_cmp_ge_u32 s22, s6
	v_add_u32_e32 v38, 0x800, v38
	s_cbranch_scc1 .LBB9_40
.LBB9_20:                               ;   Parent Loop BB9_16 Depth=1
                                        ; =>  This Inner Loop Header: Depth=2
	v_add_u32_e32 v36, s22, v28
	v_cmp_gt_u32_e32 vcc, s6, v36
	v_add_u32_e32 v34, 0x200, v36
	s_and_saveexec_b64 s[18:19], vcc
	s_cbranch_execnz .LBB9_23
; %bb.21:                               ;   in Loop: Header=BB9_20 Depth=2
	s_or_b64 exec, exec, s[18:19]
	s_and_saveexec_b64 s[18:19], vcc
	s_cbranch_execnz .LBB9_26
.LBB9_22:                               ;   in Loop: Header=BB9_20 Depth=2
	s_or_b64 exec, exec, s[18:19]
	s_and_saveexec_b64 s[4:5], vcc
	s_cbranch_execz .LBB9_19
	s_branch .LBB9_37
.LBB9_23:                               ;   in Loop: Header=BB9_20 Depth=2
	v_add_u32_e32 v30, s22, v32
	s_waitcnt lgkmcnt(0)
	v_lshl_add_u64 v[40:41], v[30:31], 1, s[10:11]
	v_lshl_add_u64 v[42:43], s[14:15], 1, v[40:41]
	global_load_dwordx4 v[12:15], v[40:41], off nt
	global_load_dwordx4 v[4:7], v[42:43], off nt
	v_cmp_gt_u32_e64 s[4:5], s6, v34
	s_and_saveexec_b64 s[20:21], s[4:5]
	s_cbranch_execz .LBB9_25
; %bb.24:                               ;   in Loop: Header=BB9_20 Depth=2
	v_add_u32_e32 v30, 0x200, v30
	v_lshl_add_u64 v[40:41], v[30:31], 1, s[10:11]
	v_lshl_add_u64 v[42:43], s[14:15], 1, v[40:41]
	global_load_dwordx4 v[8:11], v[40:41], off nt
	global_load_dwordx4 v[0:3], v[42:43], off nt
.LBB9_25:                               ;   in Loop: Header=BB9_20 Depth=2
	s_or_b64 exec, exec, s[20:21]
	s_or_b64 exec, exec, s[18:19]
	s_and_saveexec_b64 s[18:19], vcc
	s_cbranch_execz .LBB9_22
.LBB9_26:                               ;   in Loop: Header=BB9_20 Depth=2
	v_cmp_lt_u32_e64 s[4:5], s28, v36
                                        ; implicit-def: $vgpr16_vgpr17
	s_and_saveexec_b64 s[20:21], s[4:5]
	s_xor_b64 s[4:5], exec, s[20:21]
	s_cbranch_execnz .LBB9_29
; %bb.27:                               ;   in Loop: Header=BB9_20 Depth=2
	s_andn2_saveexec_b64 s[4:5], s[4:5]
	s_cbranch_execnz .LBB9_30
.LBB9_28:                               ;   in Loop: Header=BB9_20 Depth=2
	s_or_b64 exec, exec, s[4:5]
	v_cmp_gt_u32_e64 s[4:5], s6, v34
	s_and_saveexec_b64 s[20:21], s[4:5]
	s_cbranch_execnz .LBB9_31
	s_branch .LBB9_36
.LBB9_29:                               ;   in Loop: Header=BB9_20 Depth=2
	v_mov_b32_e32 v37, v31
	s_waitcnt vmcnt(0) lgkmcnt(0)
	v_lshl_add_u64 v[16:17], v[36:37], 1, s[8:9]
	global_load_dwordx4 v[16:19], v[16:17], off
	s_andn2_saveexec_b64 s[4:5], s[4:5]
	s_cbranch_execz .LBB9_28
.LBB9_30:                               ;   in Loop: Header=BB9_20 Depth=2
	s_waitcnt vmcnt(0) lgkmcnt(0)
	ds_read_b128 v[16:19], v38
	s_or_b64 exec, exec, s[4:5]
	v_cmp_gt_u32_e64 s[4:5], s6, v34
	s_and_saveexec_b64 s[20:21], s[4:5]
	s_cbranch_execz .LBB9_36
.LBB9_31:                               ;   in Loop: Header=BB9_20 Depth=2
	v_cmp_lt_u32_e64 s[4:5], s28, v34
                                        ; implicit-def: $vgpr20_vgpr21
	s_and_saveexec_b64 s[24:25], s[4:5]
	s_xor_b64 s[4:5], exec, s[24:25]
	s_cbranch_execz .LBB9_33
; %bb.32:                               ;   in Loop: Header=BB9_20 Depth=2
	v_mov_b32_e32 v35, v31
	s_waitcnt vmcnt(0) lgkmcnt(0)
	v_lshl_add_u64 v[20:21], v[34:35], 1, s[8:9]
	global_load_dwordx4 v[20:23], v[20:21], off
.LBB9_33:                               ;   in Loop: Header=BB9_20 Depth=2
	s_andn2_saveexec_b64 s[4:5], s[4:5]
	s_cbranch_execz .LBB9_35
; %bb.34:                               ;   in Loop: Header=BB9_20 Depth=2
	s_waitcnt vmcnt(0) lgkmcnt(0)
	ds_read_b128 v[20:23], v38 offset:1024
.LBB9_35:                               ;   in Loop: Header=BB9_20 Depth=2
	s_or_b64 exec, exec, s[4:5]
.LBB9_36:                               ;   in Loop: Header=BB9_20 Depth=2
	s_or_b64 exec, exec, s[20:21]
	s_or_b64 exec, exec, s[18:19]
	s_and_saveexec_b64 s[4:5], vcc
	s_cbranch_execz .LBB9_19
.LBB9_37:                               ;   in Loop: Header=BB9_20 Depth=2
	s_waitcnt vmcnt(0) lgkmcnt(0)
	;;#ASMSTART
	v_dot2c_f32_f16 v27, v16, v12
	;;#ASMEND
	;;#ASMSTART
	v_dot2c_f32_f16 v33, v16, v4
	;;#ASMEND
	v_cmp_gt_u32_e32 vcc, s6, v34
	;;#ASMSTART
	v_dot2c_f32_f16 v27, v17, v13
	;;#ASMEND
	;;#ASMSTART
	v_dot2c_f32_f16 v33, v17, v5
	;;#ASMEND
	s_nop 0
	;;#ASMSTART
	v_dot2c_f32_f16 v27, v18, v14
	;;#ASMEND
	;;#ASMSTART
	v_dot2c_f32_f16 v33, v18, v6
	;;#ASMEND
	s_nop 0
	;;#ASMSTART
	v_dot2c_f32_f16 v27, v19, v15
	;;#ASMEND
	;;#ASMSTART
	v_dot2c_f32_f16 v33, v19, v7
	;;#ASMEND
	s_and_saveexec_b64 s[18:19], vcc
	s_cbranch_execz .LBB9_18
; %bb.38:                               ;   in Loop: Header=BB9_20 Depth=2
	;;#ASMSTART
	v_dot2c_f32_f16 v27, v20, v8
	;;#ASMEND
	;;#ASMSTART
	v_dot2c_f32_f16 v33, v20, v0
	;;#ASMEND
	s_nop 0
	;;#ASMSTART
	v_dot2c_f32_f16 v27, v21, v9
	;;#ASMEND
	;;#ASMSTART
	v_dot2c_f32_f16 v33, v21, v1
	;;#ASMEND
	s_nop 0
	;; [unrolled: 7-line block ×3, first 2 shown]
	;;#ASMSTART
	v_dot2c_f32_f16 v27, v23, v11
	;;#ASMEND
	;;#ASMSTART
	v_dot2c_f32_f16 v33, v23, v3
	;;#ASMEND
	s_branch .LBB9_18
.LBB9_39:                               ;   in Loop: Header=BB9_16 Depth=1
	v_mov_b32_e32 v27, v31
	v_mov_b32_e32 v33, v31
.LBB9_40:                               ;   in Loop: Header=BB9_16 Depth=1
	;;#ASMSTART
	s_nop 0
	v_add_f32 v27, v27, v27 row_shr:8 bound_ctrl:0 
	;;#ASMEND
	;;#ASMSTART
	s_nop 0
	v_add_f32 v33, v33, v33 row_shr:8 bound_ctrl:0 
	;;#ASMEND
	s_nop 0
	;;#ASMSTART
	s_nop 0
	v_add_f32 v27, v27, v27 row_shr:4 bound_ctrl:0 
	;;#ASMEND
	;;#ASMSTART
	s_nop 0
	v_add_f32 v33, v33, v33 row_shr:4 bound_ctrl:0 
	;;#ASMEND
	s_nop 0
	;; [unrolled: 9-line block ×3, first 2 shown]
	;;#ASMSTART
	s_nop 0
	v_add_f32 v27, v27, v27 wave_shr:1 bound_ctrl:0
	;;#ASMEND
	;;#ASMSTART
	s_nop 0
	v_add_f32 v33, v33, v33 wave_shr:1 bound_ctrl:0
	;;#ASMEND
	s_nop 0
	;;#ASMSTART
	s_nop 0
	v_add_f32 v27, v27, v27 row_bcast:15 bound_ctrl:0
	;;#ASMEND
	;;#ASMSTART
	s_nop 0
	v_add_f32 v33, v33, v33 row_bcast:15 bound_ctrl:0
	;;#ASMEND
	s_nop 0
	;;#ASMSTART
	s_nop 0
	v_add_f32 v27, v27, v27 row_bcast:31 bound_ctrl:0
	;;#ASMEND
	;;#ASMSTART
	s_nop 0
	v_add_f32 v33, v33, v33 row_bcast:31 bound_ctrl:0
	;;#ASMEND
	s_and_saveexec_b64 s[4:5], s[0:1]
	s_cbranch_execz .LBB9_45
; %bb.41:                               ;   in Loop: Header=BB9_16 Depth=1
	v_cmp_ne_u32_e32 vcc, 0, v24
	s_and_saveexec_b64 s[18:19], vcc
	s_cbranch_execz .LBB9_43
; %bb.42:                               ;   in Loop: Header=BB9_16 Depth=1
	v_cvt_f16_f32_e32 v30, v27
	v_mov_b32_e32 v27, v31
	s_waitcnt lgkmcnt(0)
	v_lshl_add_u64 v[34:35], v[26:27], 1, s[12:13]
	global_store_short v[34:35], v30, off
.LBB9_43:                               ;   in Loop: Header=BB9_16 Depth=1
	s_or_b64 exec, exec, s[18:19]
	v_cmp_ne_u32_e32 vcc, 0, v25
	s_and_b64 exec, exec, vcc
	s_cbranch_execz .LBB9_45
; %bb.44:                               ;   in Loop: Header=BB9_16 Depth=1
	v_cvt_f16_f32_e32 v27, v33
	v_add_u32_e32 v30, 1, v26
	s_waitcnt lgkmcnt(0)
	v_lshl_add_u64 v[32:33], v[30:31], 1, s[12:13]
	global_store_short v[32:33], v27, off
.LBB9_45:                               ;   in Loop: Header=BB9_16 Depth=1
	s_or_b64 exec, exec, s[4:5]
	v_add_u32_e32 v26, s26, v26
	v_add_u32_e32 v27, 2, v26
	v_cmp_gt_u32_e32 vcc, s7, v26
	v_cmp_le_u32_e64 s[4:5], s7, v27
	s_and_b64 s[4:5], vcc, s[4:5]
	s_and_saveexec_b64 s[18:19], s[4:5]
	s_cbranch_execz .LBB9_15
; %bb.46:                               ;   in Loop: Header=BB9_16 Depth=1
	v_cmp_ne_u32_e32 vcc, s27, v26
	s_and_saveexec_b64 s[20:21], vcc
	s_cbranch_execz .LBB9_14
; %bb.47:                               ;   in Loop: Header=BB9_16 Depth=1
	v_subrev_u32_e32 v26, s27, v26
	v_cmp_lt_u32_e32 vcc, 1, v26
	s_mov_b64 s[22:23], 0
	s_mov_b64 s[24:25], 0
	v_cndmask_b32_e32 v26, 1, v26, vcc
.LBB9_48:                               ;   Parent Loop BB9_16 Depth=1
                                        ; =>  This Inner Loop Header: Depth=2
	s_cmp_lg_u32 s24, 1
	s_cselect_b64 vcc, -1, 0
	s_cmp_lg_u32 s24, 0
	v_cndmask_b32_e32 v25, 0, v25, vcc
	s_cselect_b64 vcc, -1, 0
	s_add_u32 s24, s24, 1
	s_addc_u32 s25, s25, 0
	v_cmp_eq_u32_e64 s[4:5], s24, v26
	s_or_b64 s[22:23], s[4:5], s[22:23]
	v_cndmask_b32_e32 v24, 0, v24, vcc
	s_andn2_b64 exec, exec, s[22:23]
	s_cbranch_execnz .LBB9_48
; %bb.49:                               ;   in Loop: Header=BB9_16 Depth=1
	s_or_b64 exec, exec, s[22:23]
	s_branch .LBB9_14
.LBB9_50:
	s_endpgm
	.section	.rodata,"a",@progbits
	.p2align	6, 0x0
	.amdhsa_kernel _Z12wvSplitK_hf_I6__halfLi64ELi2ELi16ELi8ELi2ELi1EEviiPKT_S3_PS1_ii
		.amdhsa_group_segment_fixed_size 65536
		.amdhsa_private_segment_fixed_size 0
		.amdhsa_kernarg_size 40
		.amdhsa_user_sgpr_count 2
		.amdhsa_user_sgpr_dispatch_ptr 0
		.amdhsa_user_sgpr_queue_ptr 0
		.amdhsa_user_sgpr_kernarg_segment_ptr 1
		.amdhsa_user_sgpr_dispatch_id 0
		.amdhsa_user_sgpr_kernarg_preload_length 0
		.amdhsa_user_sgpr_kernarg_preload_offset 0
		.amdhsa_user_sgpr_private_segment_size 0
		.amdhsa_uses_dynamic_stack 0
		.amdhsa_enable_private_segment 0
		.amdhsa_system_sgpr_workgroup_id_x 1
		.amdhsa_system_sgpr_workgroup_id_y 0
		.amdhsa_system_sgpr_workgroup_id_z 0
		.amdhsa_system_sgpr_workgroup_info 0
		.amdhsa_system_vgpr_workitem_id 1
		.amdhsa_next_free_vgpr 44
		.amdhsa_next_free_sgpr 29
		.amdhsa_accum_offset 44
		.amdhsa_reserve_vcc 1
		.amdhsa_float_round_mode_32 0
		.amdhsa_float_round_mode_16_64 0
		.amdhsa_float_denorm_mode_32 3
		.amdhsa_float_denorm_mode_16_64 3
		.amdhsa_dx10_clamp 1
		.amdhsa_ieee_mode 1
		.amdhsa_fp16_overflow 0
		.amdhsa_tg_split 0
		.amdhsa_exception_fp_ieee_invalid_op 0
		.amdhsa_exception_fp_denorm_src 0
		.amdhsa_exception_fp_ieee_div_zero 0
		.amdhsa_exception_fp_ieee_overflow 0
		.amdhsa_exception_fp_ieee_underflow 0
		.amdhsa_exception_fp_ieee_inexact 0
		.amdhsa_exception_int_div_zero 0
	.end_amdhsa_kernel
	.section	.text._Z12wvSplitK_hf_I6__halfLi64ELi2ELi16ELi8ELi2ELi1EEviiPKT_S3_PS1_ii,"axG",@progbits,_Z12wvSplitK_hf_I6__halfLi64ELi2ELi16ELi8ELi2ELi1EEviiPKT_S3_PS1_ii,comdat
.Lfunc_end9:
	.size	_Z12wvSplitK_hf_I6__halfLi64ELi2ELi16ELi8ELi2ELi1EEviiPKT_S3_PS1_ii, .Lfunc_end9-_Z12wvSplitK_hf_I6__halfLi64ELi2ELi16ELi8ELi2ELi1EEviiPKT_S3_PS1_ii
                                        ; -- End function
	.section	.AMDGPU.csdata,"",@progbits
; Kernel info:
; codeLenInByte = 1556
; NumSgprs: 35
; NumVgprs: 44
; NumAgprs: 0
; TotalNumVgprs: 44
; ScratchSize: 0
; MemoryBound: 1
; FloatMode: 240
; IeeeMode: 1
; LDSByteSize: 65536 bytes/workgroup (compile time only)
; SGPRBlocks: 4
; VGPRBlocks: 5
; NumSGPRsForWavesPerEU: 35
; NumVGPRsForWavesPerEU: 44
; AccumOffset: 44
; Occupancy: 4
; WaveLimiterHint : 0
; COMPUTE_PGM_RSRC2:SCRATCH_EN: 0
; COMPUTE_PGM_RSRC2:USER_SGPR: 2
; COMPUTE_PGM_RSRC2:TRAP_HANDLER: 0
; COMPUTE_PGM_RSRC2:TGID_X_EN: 1
; COMPUTE_PGM_RSRC2:TGID_Y_EN: 0
; COMPUTE_PGM_RSRC2:TGID_Z_EN: 0
; COMPUTE_PGM_RSRC2:TIDIG_COMP_CNT: 1
; COMPUTE_PGM_RSRC3_GFX90A:ACCUM_OFFSET: 10
; COMPUTE_PGM_RSRC3_GFX90A:TG_SPLIT: 0
	.section	.text._Z16wvSplitK_hf_big_I6__halfLi64ELi2ELi16ELi8ELi2ELi1EEviiPKT_S3_PS1_ii,"axG",@progbits,_Z16wvSplitK_hf_big_I6__halfLi64ELi2ELi16ELi8ELi2ELi1EEviiPKT_S3_PS1_ii,comdat
	.protected	_Z16wvSplitK_hf_big_I6__halfLi64ELi2ELi16ELi8ELi2ELi1EEviiPKT_S3_PS1_ii ; -- Begin function _Z16wvSplitK_hf_big_I6__halfLi64ELi2ELi16ELi8ELi2ELi1EEviiPKT_S3_PS1_ii
	.globl	_Z16wvSplitK_hf_big_I6__halfLi64ELi2ELi16ELi8ELi2ELi1EEviiPKT_S3_PS1_ii
	.p2align	8
	.type	_Z16wvSplitK_hf_big_I6__halfLi64ELi2ELi16ELi8ELi2ELi1EEviiPKT_S3_PS1_ii,@function
_Z16wvSplitK_hf_big_I6__halfLi64ELi2ELi16ELi8ELi2ELi1EEviiPKT_S3_PS1_ii: ; @_Z16wvSplitK_hf_big_I6__halfLi64ELi2ELi16ELi8ELi2ELi1EEviiPKT_S3_PS1_ii
; %bb.0:
	s_load_dwordx2 s[4:5], s[0:1], 0x20
	v_bfe_u32 v1, v0, 10, 10
	s_waitcnt lgkmcnt(0)
	v_cmp_gt_u32_e32 vcc, s4, v1
	s_and_saveexec_b64 s[6:7], vcc
	s_cbranch_execz .LBB10_51
; %bb.1:
	s_load_dwordx2 s[10:11], s[0:1], 0x0
	s_mul_i32 s2, s2, s4
	v_add_lshl_u32 v26, s2, v1, 1
	s_mov_b32 s6, 1
	v_add_u32_e32 v2, 2, v26
	s_waitcnt lgkmcnt(0)
	v_cmp_gt_u32_e32 vcc, s11, v26
	v_cmp_le_u32_e64 s[2:3], s11, v2
	s_mov_b32 s7, s6
	s_and_b64 s[8:9], vcc, s[2:3]
	v_mov_b64_e32 v[24:25], s[6:7]
	s_and_saveexec_b64 s[2:3], s[8:9]
	s_cbranch_execz .LBB10_7
; %bb.2:
	s_add_i32 s16, s11, -2
	v_cmp_ne_u32_e32 vcc, s16, v26
	v_mov_b64_e32 v[24:25], s[6:7]
	s_and_saveexec_b64 s[6:7], vcc
	s_cbranch_execz .LBB10_6
; %bb.3:
	v_subrev_u32_e32 v2, s16, v26
	s_mov_b32 s8, 1
	v_cmp_lt_u32_e32 vcc, 1, v2
	s_mov_b64 s[12:13], 0
	s_mov_b64 s[14:15], 0
	v_cndmask_b32_e32 v2, 1, v2, vcc
	s_mov_b32 s9, s8
.LBB10_4:                               ; =>This Inner Loop Header: Depth=1
	s_cmp_lg_u32 s14, 1
	s_cselect_b32 s9, s9, 0
	s_cmp_lg_u32 s14, 0
	s_cselect_b32 s8, s8, 0
	s_add_u32 s14, s14, 1
	s_addc_u32 s15, s15, 0
	v_cmp_eq_u32_e32 vcc, s14, v2
	s_or_b64 s[12:13], vcc, s[12:13]
	v_mov_b64_e32 v[24:25], s[8:9]
	s_andn2_b64 exec, exec, s[12:13]
	s_cbranch_execnz .LBB10_4
; %bb.5:
	s_or_b64 exec, exec, s[12:13]
	v_mov_b32_e32 v26, s16
.LBB10_6:
	s_or_b64 exec, exec, s[6:7]
.LBB10_7:
	s_or_b64 exec, exec, s[2:3]
	s_lshl_b32 s2, s4, 1
	s_abs_i32 s3, s2
	v_cvt_f32_u32_e32 v2, s3
	s_sub_i32 s8, 0, s3
	s_abs_i32 s7, s11
	s_ashr_i32 s6, s11, 31
	v_rcp_iflag_f32_e32 v2, v2
	s_nop 0
	v_mul_f32_e32 v2, 0x4f7ffffe, v2
	v_cvt_u32_f32_e32 v2, v2
	s_nop 0
	v_readfirstlane_b32 s9, v2
	s_mul_i32 s8, s8, s9
	s_mul_hi_u32 s8, s9, s8
	s_add_i32 s9, s9, s8
	s_mul_hi_u32 s8, s7, s9
	s_mul_i32 s8, s8, s3
	s_sub_i32 s7, s7, s8
	s_sub_i32 s8, s7, s3
	s_cmp_ge_u32 s7, s3
	s_cselect_b32 s7, s8, s7
	s_sub_i32 s8, s7, s3
	s_cmp_ge_u32 s7, s3
	s_cselect_b32 s3, s8, s7
	s_xor_b32 s3, s3, s6
	s_sub_i32 s3, s3, s6
	s_add_i32 s2, s2, s11
	s_sub_i32 s2, s2, s3
	s_cmp_eq_u32 s3, 0
	s_cselect_b32 s33, s11, s2
	v_cmp_gt_u32_e32 vcc, s33, v26
	s_and_b64 exec, exec, vcc
	s_cbranch_execz .LBB10_51
; %bb.8:
	s_mov_b32 s2, 0
	s_load_dwordx4 s[12:15], s[0:1], 0x8
	s_load_dwordx2 s[16:17], s[0:1], 0x18
	v_cvt_f64_i32_e32 v[2:3], s10
	s_mov_b32 s3, 0x40e00000
	v_min_f64 v[2:3], v[2:3], s[2:3]
	s_cmp_lg_u32 s10, 0
	v_and_b32_e32 v0, 0x3ff, v0
	s_mul_i32 s0, s5, s4
	v_cvt_u32_f64_e32 v2, v[2:3]
	v_lshlrev_b32_e32 v30, 3, v0
	s_cselect_b64 s[2:3], -1, 0
	s_lshl_b32 s36, s0, 1
	v_cmp_eq_u32_e64 s[0:1], 63, v0
	v_lshlrev_b32_e32 v0, 4, v0
	s_lshl_b32 s35, s4, 9
	s_add_i32 s37, s11, -2
	s_ashr_i32 s19, s10, 31
	v_lshl_add_u32 v31, v1, 10, v0
	v_cndmask_b32_e64 v0, 0, 1, s[2:3]
	v_cmp_ne_u32_e32 vcc, 0, v2
	s_waitcnt lgkmcnt(0)
	s_add_u32 s20, s16, 2
	v_cmp_ne_u32_e64 s[2:3], 1, v0
	v_cndmask_b32_e64 v0, 0, 1, vcc
	v_readfirstlane_b32 s34, v2
	s_mov_b32 s18, s10
	s_addc_u32 s21, s17, 0
	s_lshl_b32 s38, s4, 10
	v_lshl_add_u32 v32, v1, 9, v30
	s_mov_b64 s[22:23], 0
	v_cmp_ne_u32_e64 s[4:5], 1, v0
	v_mov_b32_e32 v29, 0
                                        ; implicit-def: $vgpr4_vgpr5_vgpr6_vgpr7
                                        ; implicit-def: $vgpr12_vgpr13_vgpr14_vgpr15
                                        ; implicit-def: $vgpr8_vgpr9_vgpr10_vgpr11
                                        ; implicit-def: $vgpr16_vgpr17_vgpr18_vgpr19
                                        ; implicit-def: $vgpr2_vgpr3
                                        ; implicit-def: $vgpr22_vgpr23
	s_branch .LBB10_12
.LBB10_9:                               ;   in Loop: Header=BB10_12 Depth=1
	s_or_b64 exec, exec, s[26:27]
	v_mov_b32_e32 v26, s37
.LBB10_10:                              ;   in Loop: Header=BB10_12 Depth=1
	s_or_b64 exec, exec, s[24:25]
.LBB10_11:                              ;   in Loop: Header=BB10_12 Depth=1
	s_or_b64 exec, exec, s[8:9]
	v_cmp_le_u32_e32 vcc, s33, v26
	s_or_b64 s[22:23], vcc, s[22:23]
	s_andn2_b64 exec, exec, s[22:23]
	s_cbranch_execz .LBB10_51
.LBB10_12:                              ; =>This Loop Header: Depth=1
                                        ;     Child Loop BB10_17 Depth 2
                                        ;       Child Loop BB10_21 Depth 3
                                        ;     Child Loop BB10_49 Depth 2
	s_and_b64 vcc, exec, s[2:3]
	s_mov_b32 s30, 0
	s_cbranch_vccnz .LBB10_37
; %bb.13:                               ;   in Loop: Header=BB10_12 Depth=1
	v_cmp_gt_u32_e64 s[6:7], s11, v26
	v_mul_lo_u32 v34, v26, s10
	v_mov_b32_e32 v33, 0
	v_mov_b32_e32 v27, 0
	s_mov_b32 s31, 0
	s_branch .LBB10_17
.LBB10_14:                              ;   in Loop: Header=BB10_17 Depth=2
	s_or_b64 exec, exec, s[26:27]
.LBB10_15:                              ;   in Loop: Header=BB10_17 Depth=2
	s_or_b64 exec, exec, s[8:9]
.LBB10_16:                              ;   in Loop: Header=BB10_17 Depth=2
	s_or_b64 exec, exec, s[24:25]
	s_addk_i32 s31, 0x400
	s_cmp_ge_u32 s31, s10
	s_cbranch_scc1 .LBB10_38
.LBB10_17:                              ;   Parent Loop BB10_12 Depth=1
                                        ; =>  This Loop Header: Depth=2
                                        ;       Child Loop BB10_21 Depth 3
	s_cmp_eq_u32 s31, 0
	s_cselect_b64 s[8:9], -1, 0
	s_add_i32 s24, s30, s34
	s_cmp_eq_u32 s31, s24
	s_cselect_b64 s[26:27], -1, 0
	s_or_b64 s[26:27], s[8:9], s[26:27]
	s_andn2_b64 vcc, exec, s[26:27]
	s_cbranch_vccnz .LBB10_25
; %bb.18:                               ;   in Loop: Header=BB10_17 Depth=2
	s_and_b64 s[8:9], s[8:9], exec
	s_cselect_b32 s30, s30, s24
	s_and_b64 vcc, exec, s[4:5]
	s_barrier
	s_cbranch_vccnz .LBB10_24
; %bb.19:                               ;   in Loop: Header=BB10_17 Depth=2
	v_add_u32_e32 v35, s30, v32
	s_mov_b32 s28, 0
	s_mov_b64 s[24:25], 0
	v_mov_b32_e32 v36, v31
                                        ; implicit-def: $sgpr26_sgpr27
	s_branch .LBB10_21
.LBB10_20:                              ;   in Loop: Header=BB10_21 Depth=3
	s_or_b64 exec, exec, s[8:9]
	s_and_b64 s[8:9], exec, s[26:27]
	s_or_b64 s[24:25], s[8:9], s[24:25]
	s_andn2_b64 exec, exec, s[24:25]
	s_cbranch_execz .LBB10_23
.LBB10_21:                              ;   Parent Loop BB10_12 Depth=1
                                        ;     Parent Loop BB10_17 Depth=2
                                        ; =>    This Inner Loop Header: Depth=3
	v_add_u32_e32 v37, s28, v32
	v_add_u32_e32 v28, s28, v35
	v_cmp_gt_u32_e32 vcc, s10, v28
	v_cmp_gt_u32_e64 s[8:9], s34, v37
	s_and_b64 s[40:41], vcc, s[8:9]
	s_or_b64 s[26:27], s[26:27], exec
	s_and_saveexec_b64 s[8:9], s[40:41]
	s_cbranch_execz .LBB10_20
; %bb.22:                               ;   in Loop: Header=BB10_21 Depth=3
	v_lshl_add_u64 v[38:39], v[28:29], 1, s[14:15]
	global_load_dwordx4 v[38:41], v[38:39], off
	s_add_i32 s28, s28, s35
	s_cmp_ge_u32 s28, s34
	s_cselect_b64 s[40:41], -1, 0
	s_andn2_b64 s[26:27], s[26:27], exec
	s_and_b64 s[40:41], s[40:41], exec
	s_or_b64 s[26:27], s[26:27], s[40:41]
	s_waitcnt vmcnt(0)
	ds_write_b128 v36, v[38:41]
	v_add_u32_e32 v36, s38, v36
	s_branch .LBB10_20
.LBB10_23:                              ;   in Loop: Header=BB10_17 Depth=2
	s_or_b64 exec, exec, s[24:25]
.LBB10_24:                              ;   in Loop: Header=BB10_17 Depth=2
	s_waitcnt lgkmcnt(0)
	s_barrier
.LBB10_25:                              ;   in Loop: Header=BB10_17 Depth=2
	s_and_saveexec_b64 s[24:25], s[6:7]
	s_cbranch_execz .LBB10_16
; %bb.26:                               ;   in Loop: Header=BB10_17 Depth=2
	v_add_u32_e32 v35, s31, v30
	v_cmp_gt_u32_e32 vcc, s10, v35
	s_and_saveexec_b64 s[26:27], vcc
	s_cbranch_execnz .LBB10_29
; %bb.27:                               ;   in Loop: Header=BB10_17 Depth=2
	s_or_b64 exec, exec, s[26:27]
	s_and_saveexec_b64 s[26:27], vcc
	s_cbranch_execnz .LBB10_32
.LBB10_28:                              ;   in Loop: Header=BB10_17 Depth=2
	s_or_b64 exec, exec, s[26:27]
	s_and_saveexec_b64 s[8:9], vcc
	s_cbranch_execz .LBB10_15
	s_branch .LBB10_35
.LBB10_29:                              ;   in Loop: Header=BB10_17 Depth=2
	v_add_u32_e32 v28, v35, v34
	v_lshl_add_u64 v[36:37], v[28:29], 1, s[12:13]
	v_lshl_add_u64 v[38:39], s[18:19], 1, v[36:37]
	global_load_dwordx4 v[16:19], v[36:37], off nt
	global_load_dwordx4 v[12:15], v[38:39], off nt
	v_add_u32_e32 v28, 0x200, v35
	v_cmp_gt_u32_e64 s[8:9], s10, v28
	s_and_saveexec_b64 s[28:29], s[8:9]
	s_cbranch_execz .LBB10_31
; %bb.30:                               ;   in Loop: Header=BB10_17 Depth=2
	v_add_u32_e32 v28, v28, v34
	v_lshl_add_u64 v[36:37], v[28:29], 1, s[12:13]
	v_lshl_add_u64 v[38:39], s[18:19], 1, v[36:37]
	global_load_dwordx4 v[8:11], v[36:37], off nt
	global_load_dwordx4 v[4:7], v[38:39], off nt
.LBB10_31:                              ;   in Loop: Header=BB10_17 Depth=2
	s_or_b64 exec, exec, s[28:29]
	s_or_b64 exec, exec, s[26:27]
	s_and_saveexec_b64 s[26:27], vcc
	s_cbranch_execz .LBB10_28
.LBB10_32:                              ;   in Loop: Header=BB10_17 Depth=2
	s_waitcnt lgkmcnt(0)
	v_subrev_u32_e32 v20, s30, v35
	v_lshlrev_b32_e32 v28, 1, v20
	ds_read_b128 v[20:23], v28
	v_add_u32_e32 v36, 0x200, v35
	v_cmp_gt_u32_e64 s[8:9], s10, v36
	s_and_saveexec_b64 s[28:29], s[8:9]
	s_cbranch_execz .LBB10_34
; %bb.33:                               ;   in Loop: Header=BB10_17 Depth=2
	ds_read_b128 v[0:3], v28 offset:1024
.LBB10_34:                              ;   in Loop: Header=BB10_17 Depth=2
	s_or_b64 exec, exec, s[28:29]
	s_or_b64 exec, exec, s[26:27]
	s_and_saveexec_b64 s[8:9], vcc
	s_cbranch_execz .LBB10_15
.LBB10_35:                              ;   in Loop: Header=BB10_17 Depth=2
	s_waitcnt vmcnt(1) lgkmcnt(0)
	;;#ASMSTART
	v_dot2c_f32_f16 v27, v20, v16
	;;#ASMEND
	s_waitcnt vmcnt(0)
	;;#ASMSTART
	v_dot2c_f32_f16 v33, v20, v12
	;;#ASMEND
	v_add_u32_e32 v28, 0x200, v35
	;;#ASMSTART
	v_dot2c_f32_f16 v27, v21, v17
	;;#ASMEND
	;;#ASMSTART
	v_dot2c_f32_f16 v33, v21, v13
	;;#ASMEND
	v_cmp_gt_u32_e32 vcc, s10, v28
	;;#ASMSTART
	v_dot2c_f32_f16 v27, v22, v18
	;;#ASMEND
	;;#ASMSTART
	v_dot2c_f32_f16 v33, v22, v14
	;;#ASMEND
	s_nop 0
	;;#ASMSTART
	v_dot2c_f32_f16 v27, v23, v19
	;;#ASMEND
	;;#ASMSTART
	v_dot2c_f32_f16 v33, v23, v15
	;;#ASMEND
	s_and_saveexec_b64 s[26:27], vcc
	s_cbranch_execz .LBB10_14
; %bb.36:                               ;   in Loop: Header=BB10_17 Depth=2
	;;#ASMSTART
	v_dot2c_f32_f16 v27, v0, v8
	;;#ASMEND
	;;#ASMSTART
	v_dot2c_f32_f16 v33, v0, v4
	;;#ASMEND
	s_nop 0
	;;#ASMSTART
	v_dot2c_f32_f16 v27, v1, v9
	;;#ASMEND
	;;#ASMSTART
	v_dot2c_f32_f16 v33, v1, v5
	;;#ASMEND
	s_nop 0
	;; [unrolled: 7-line block ×3, first 2 shown]
	;;#ASMSTART
	v_dot2c_f32_f16 v27, v3, v11
	;;#ASMEND
	;;#ASMSTART
	v_dot2c_f32_f16 v33, v3, v7
	;;#ASMEND
	s_branch .LBB10_14
.LBB10_37:                              ;   in Loop: Header=BB10_12 Depth=1
	v_mov_b32_e32 v27, v29
	v_mov_b32_e32 v33, v29
.LBB10_38:                              ;   in Loop: Header=BB10_12 Depth=1
	v_cmp_le_u32_e32 vcc, s11, v26
	s_and_saveexec_b64 s[6:7], vcc
	s_xor_b64 s[6:7], exec, s[6:7]
; %bb.39:                               ;   in Loop: Header=BB10_12 Depth=1
	v_add_u32_e32 v26, s36, v26
                                        ; implicit-def: $vgpr27
                                        ; implicit-def: $vgpr33
; %bb.40:                               ;   in Loop: Header=BB10_12 Depth=1
	s_andn2_saveexec_b64 s[8:9], s[6:7]
	s_cbranch_execz .LBB10_11
; %bb.41:                               ;   in Loop: Header=BB10_12 Depth=1
	;;#ASMSTART
	s_nop 0
	v_add_f32 v27, v27, v27 row_shr:8 bound_ctrl:0 
	;;#ASMEND
	;;#ASMSTART
	s_nop 0
	v_add_f32 v33, v33, v33 row_shr:8 bound_ctrl:0 
	;;#ASMEND
	s_nop 0
	;;#ASMSTART
	s_nop 0
	v_add_f32 v27, v27, v27 row_shr:4 bound_ctrl:0 
	;;#ASMEND
	;;#ASMSTART
	s_nop 0
	v_add_f32 v33, v33, v33 row_shr:4 bound_ctrl:0 
	;;#ASMEND
	s_nop 0
	;; [unrolled: 9-line block ×3, first 2 shown]
	;;#ASMSTART
	s_nop 0
	v_add_f32 v27, v27, v27 wave_shr:1 bound_ctrl:0
	;;#ASMEND
	;;#ASMSTART
	s_nop 0
	v_add_f32 v33, v33, v33 wave_shr:1 bound_ctrl:0
	;;#ASMEND
	s_nop 0
	;;#ASMSTART
	s_nop 0
	v_add_f32 v27, v27, v27 row_bcast:15 bound_ctrl:0
	;;#ASMEND
	;;#ASMSTART
	s_nop 0
	v_add_f32 v33, v33, v33 row_bcast:15 bound_ctrl:0
	;;#ASMEND
	s_nop 0
	;;#ASMSTART
	s_nop 0
	v_add_f32 v27, v27, v27 row_bcast:31 bound_ctrl:0
	;;#ASMEND
	;;#ASMSTART
	s_nop 0
	v_add_f32 v33, v33, v33 row_bcast:31 bound_ctrl:0
	;;#ASMEND
	s_and_saveexec_b64 s[6:7], s[0:1]
	s_cbranch_execz .LBB10_46
; %bb.42:                               ;   in Loop: Header=BB10_12 Depth=1
	v_cmp_ne_u32_e32 vcc, 0, v24
	s_and_saveexec_b64 s[24:25], vcc
	s_cbranch_execz .LBB10_44
; %bb.43:                               ;   in Loop: Header=BB10_12 Depth=1
	v_cvt_f16_f32_e32 v28, v27
	v_mov_b32_e32 v27, v29
	v_lshl_add_u64 v[34:35], v[26:27], 1, s[16:17]
	global_store_short v[34:35], v28, off
.LBB10_44:                              ;   in Loop: Header=BB10_12 Depth=1
	s_or_b64 exec, exec, s[24:25]
	v_cmp_ne_u32_e32 vcc, 0, v25
	s_and_b64 exec, exec, vcc
	s_cbranch_execz .LBB10_46
; %bb.45:                               ;   in Loop: Header=BB10_12 Depth=1
	v_cvt_f16_f32_e32 v28, v33
	v_mov_b32_e32 v27, v29
	v_lshl_add_u64 v[34:35], v[26:27], 1, s[20:21]
	global_store_short v[34:35], v28, off
.LBB10_46:                              ;   in Loop: Header=BB10_12 Depth=1
	s_or_b64 exec, exec, s[6:7]
	v_add_u32_e32 v26, s36, v26
	v_add_u32_e32 v27, 2, v26
	v_cmp_gt_u32_e32 vcc, s11, v26
	v_cmp_le_u32_e64 s[6:7], s11, v27
	s_and_b64 s[6:7], vcc, s[6:7]
	s_and_saveexec_b64 s[24:25], s[6:7]
	s_cbranch_execz .LBB10_10
; %bb.47:                               ;   in Loop: Header=BB10_12 Depth=1
	v_cmp_ne_u32_e32 vcc, s37, v26
	s_and_saveexec_b64 s[26:27], vcc
	s_cbranch_execz .LBB10_9
; %bb.48:                               ;   in Loop: Header=BB10_12 Depth=1
	v_subrev_u32_e32 v26, s37, v26
	v_cmp_lt_u32_e32 vcc, 1, v26
	s_mov_b64 s[28:29], 0
	s_mov_b64 s[30:31], 0
	v_cndmask_b32_e32 v26, 1, v26, vcc
.LBB10_49:                              ;   Parent Loop BB10_12 Depth=1
                                        ; =>  This Inner Loop Header: Depth=2
	s_cmp_lg_u32 s30, 1
	s_cselect_b64 vcc, -1, 0
	s_cmp_lg_u32 s30, 0
	v_cndmask_b32_e32 v25, 0, v25, vcc
	s_cselect_b64 vcc, -1, 0
	s_add_u32 s30, s30, 1
	s_addc_u32 s31, s31, 0
	v_cmp_eq_u32_e64 s[6:7], s30, v26
	s_or_b64 s[28:29], s[6:7], s[28:29]
	v_cndmask_b32_e32 v24, 0, v24, vcc
	s_andn2_b64 exec, exec, s[28:29]
	s_cbranch_execnz .LBB10_49
; %bb.50:                               ;   in Loop: Header=BB10_12 Depth=1
	s_or_b64 exec, exec, s[28:29]
	s_branch .LBB10_9
.LBB10_51:
	s_endpgm
	.section	.rodata,"a",@progbits
	.p2align	6, 0x0
	.amdhsa_kernel _Z16wvSplitK_hf_big_I6__halfLi64ELi2ELi16ELi8ELi2ELi1EEviiPKT_S3_PS1_ii
		.amdhsa_group_segment_fixed_size 65536
		.amdhsa_private_segment_fixed_size 0
		.amdhsa_kernarg_size 40
		.amdhsa_user_sgpr_count 2
		.amdhsa_user_sgpr_dispatch_ptr 0
		.amdhsa_user_sgpr_queue_ptr 0
		.amdhsa_user_sgpr_kernarg_segment_ptr 1
		.amdhsa_user_sgpr_dispatch_id 0
		.amdhsa_user_sgpr_kernarg_preload_length 0
		.amdhsa_user_sgpr_kernarg_preload_offset 0
		.amdhsa_user_sgpr_private_segment_size 0
		.amdhsa_uses_dynamic_stack 0
		.amdhsa_enable_private_segment 0
		.amdhsa_system_sgpr_workgroup_id_x 1
		.amdhsa_system_sgpr_workgroup_id_y 0
		.amdhsa_system_sgpr_workgroup_id_z 0
		.amdhsa_system_sgpr_workgroup_info 0
		.amdhsa_system_vgpr_workitem_id 1
		.amdhsa_next_free_vgpr 42
		.amdhsa_next_free_sgpr 42
		.amdhsa_accum_offset 44
		.amdhsa_reserve_vcc 1
		.amdhsa_float_round_mode_32 0
		.amdhsa_float_round_mode_16_64 0
		.amdhsa_float_denorm_mode_32 3
		.amdhsa_float_denorm_mode_16_64 3
		.amdhsa_dx10_clamp 1
		.amdhsa_ieee_mode 1
		.amdhsa_fp16_overflow 0
		.amdhsa_tg_split 0
		.amdhsa_exception_fp_ieee_invalid_op 0
		.amdhsa_exception_fp_denorm_src 0
		.amdhsa_exception_fp_ieee_div_zero 0
		.amdhsa_exception_fp_ieee_overflow 0
		.amdhsa_exception_fp_ieee_underflow 0
		.amdhsa_exception_fp_ieee_inexact 0
		.amdhsa_exception_int_div_zero 0
	.end_amdhsa_kernel
	.section	.text._Z16wvSplitK_hf_big_I6__halfLi64ELi2ELi16ELi8ELi2ELi1EEviiPKT_S3_PS1_ii,"axG",@progbits,_Z16wvSplitK_hf_big_I6__halfLi64ELi2ELi16ELi8ELi2ELi1EEviiPKT_S3_PS1_ii,comdat
.Lfunc_end10:
	.size	_Z16wvSplitK_hf_big_I6__halfLi64ELi2ELi16ELi8ELi2ELi1EEviiPKT_S3_PS1_ii, .Lfunc_end10-_Z16wvSplitK_hf_big_I6__halfLi64ELi2ELi16ELi8ELi2ELi1EEviiPKT_S3_PS1_ii
                                        ; -- End function
	.section	.AMDGPU.csdata,"",@progbits
; Kernel info:
; codeLenInByte = 1692
; NumSgprs: 48
; NumVgprs: 42
; NumAgprs: 0
; TotalNumVgprs: 42
; ScratchSize: 0
; MemoryBound: 0
; FloatMode: 240
; IeeeMode: 1
; LDSByteSize: 65536 bytes/workgroup (compile time only)
; SGPRBlocks: 5
; VGPRBlocks: 5
; NumSGPRsForWavesPerEU: 48
; NumVGPRsForWavesPerEU: 42
; AccumOffset: 44
; Occupancy: 4
; WaveLimiterHint : 0
; COMPUTE_PGM_RSRC2:SCRATCH_EN: 0
; COMPUTE_PGM_RSRC2:USER_SGPR: 2
; COMPUTE_PGM_RSRC2:TRAP_HANDLER: 0
; COMPUTE_PGM_RSRC2:TGID_X_EN: 1
; COMPUTE_PGM_RSRC2:TGID_Y_EN: 0
; COMPUTE_PGM_RSRC2:TGID_Z_EN: 0
; COMPUTE_PGM_RSRC2:TIDIG_COMP_CNT: 1
; COMPUTE_PGM_RSRC3_GFX90A:ACCUM_OFFSET: 10
; COMPUTE_PGM_RSRC3_GFX90A:TG_SPLIT: 0
	.section	.text._Z16wvSplitK_hf_sml_I6__halfLi64ELi2ELi16ELi8ELi2ELi2EEviiPKT_S3_PS1_ii,"axG",@progbits,_Z16wvSplitK_hf_sml_I6__halfLi64ELi2ELi16ELi8ELi2ELi2EEviiPKT_S3_PS1_ii,comdat
	.protected	_Z16wvSplitK_hf_sml_I6__halfLi64ELi2ELi16ELi8ELi2ELi2EEviiPKT_S3_PS1_ii ; -- Begin function _Z16wvSplitK_hf_sml_I6__halfLi64ELi2ELi16ELi8ELi2ELi2EEviiPKT_S3_PS1_ii
	.globl	_Z16wvSplitK_hf_sml_I6__halfLi64ELi2ELi16ELi8ELi2ELi2EEviiPKT_S3_PS1_ii
	.p2align	8
	.type	_Z16wvSplitK_hf_sml_I6__halfLi64ELi2ELi16ELi8ELi2ELi2EEviiPKT_S3_PS1_ii,@function
_Z16wvSplitK_hf_sml_I6__halfLi64ELi2ELi16ELi8ELi2ELi2EEviiPKT_S3_PS1_ii: ; @_Z16wvSplitK_hf_sml_I6__halfLi64ELi2ELi16ELi8ELi2ELi2EEviiPKT_S3_PS1_ii
; %bb.0:
	s_load_dwordx2 s[6:7], s[0:1], 0x0
	v_and_b32_e32 v2, 0x3ff, v0
	v_bfe_u32 v3, v0, 10, 10
	v_lshlrev_b32_e32 v36, 3, v2
	s_mov_b32 s3, 0
	s_waitcnt lgkmcnt(0)
	s_lshl_b32 s20, s6, 1
	s_cmp_lg_u32 s6, 0
	s_cselect_b64 s[4:5], -1, 0
	s_cmp_eq_u32 s6, 0
	s_cbranch_scc1 .LBB11_6
; %bb.1:
	s_load_dwordx2 s[8:9], s[0:1], 0x10
	v_lshlrev_b32_e32 v0, 4, v2
	s_min_i32 s16, s20, 0x8000
	v_lshl_add_u32 v4, v3, 10, v0
	v_lshl_add_u32 v5, v3, 9, v36
	s_mov_b64 s[10:11], 0
	v_mov_b32_e32 v1, 0
                                        ; implicit-def: $sgpr12_sgpr13
	s_branch .LBB11_3
.LBB11_2:                               ;   in Loop: Header=BB11_3 Depth=1
	s_or_b64 exec, exec, s[14:15]
	s_and_b64 s[14:15], exec, s[12:13]
	s_or_b64 s[10:11], s[14:15], s[10:11]
	s_andn2_b64 exec, exec, s[10:11]
	s_cbranch_execz .LBB11_5
.LBB11_3:                               ; =>This Inner Loop Header: Depth=1
	v_add_u32_e32 v0, s3, v5
	v_cmp_gt_u32_e32 vcc, s16, v0
	s_or_b64 s[12:13], s[12:13], exec
	s_and_saveexec_b64 s[14:15], vcc
	s_cbranch_execz .LBB11_2
; %bb.4:                                ;   in Loop: Header=BB11_3 Depth=1
	s_waitcnt lgkmcnt(0)
	v_lshl_add_u64 v[6:7], v[0:1], 1, s[8:9]
	global_load_dwordx4 v[6:9], v[6:7], off
	s_addk_i32 s3, 0x2000
	s_cmp_ge_u32 s3, s16
	s_cselect_b64 s[18:19], -1, 0
	s_andn2_b64 s[12:13], s[12:13], exec
	s_and_b64 s[18:19], s[18:19], exec
	s_or_b64 s[12:13], s[12:13], s[18:19]
	s_waitcnt vmcnt(0)
	ds_write_b128 v4, v[6:9]
	v_add_u32_e32 v4, 0x4000, v4
	s_branch .LBB11_2
.LBB11_5:
	s_or_b64 exec, exec, s[10:11]
.LBB11_6:
	s_load_dwordx2 s[12:13], s[0:1], 0x20
	s_waitcnt lgkmcnt(0)
	s_barrier
	v_cmp_gt_u32_e32 vcc, s12, v3
	s_and_saveexec_b64 s[8:9], vcc
	s_cbranch_execz .LBB11_28
; %bb.7:
	s_mul_i32 s2, s2, s12
	v_add_u32_e32 v0, s2, v3
	v_lshlrev_b32_e32 v32, 1, v0
	v_cmp_gt_u32_e32 vcc, s7, v32
	s_and_b64 exec, exec, vcc
	s_cbranch_execz .LBB11_28
; %bb.8:
	s_load_dwordx2 s[8:9], s[0:1], 0x8
	s_load_dwordx2 s[10:11], s[0:1], 0x18
	s_mul_i32 s2, s12, s13
	v_mul_lo_u32 v0, s6, v0
	s_lshl_b32 s21, s2, 1
	v_lshl_add_u32 v38, v0, 1, v36
	s_mul_i32 s2, s2, s6
	v_cndmask_b32_e64 v0, 0, 1, s[4:5]
	v_cmp_eq_u32_e64 s[0:1], 63, v2
	s_ashr_i32 s13, s6, 31
	s_mov_b32 s12, s6
	v_lshlrev_b32_e32 v37, 4, v2
	s_lshl_b32 s22, s2, 1
	s_mov_b64 s[14:15], 0
	v_cmp_ne_u32_e64 s[2:3], 1, v0
	v_mov_b32_e32 v35, 0
                                        ; implicit-def: $vgpr4_vgpr5_vgpr6_vgpr7
                                        ; implicit-def: $vgpr8_vgpr9_vgpr10_vgpr11
                                        ; implicit-def: $vgpr12_vgpr13_vgpr14_vgpr15
                                        ; implicit-def: $vgpr16_vgpr17_vgpr18_vgpr19
                                        ; implicit-def: $vgpr30_vgpr31
                                        ; implicit-def: $vgpr2_vgpr3
                                        ; implicit-def: $vgpr22_vgpr23
                                        ; implicit-def: $vgpr26_vgpr27
	s_branch .LBB11_10
.LBB11_9:                               ;   in Loop: Header=BB11_10 Depth=1
	s_or_b64 exec, exec, s[4:5]
	v_add_u32_e32 v32, s21, v32
	v_cmp_le_u32_e32 vcc, s7, v32
	s_or_b64 s[14:15], vcc, s[14:15]
	v_add_u32_e32 v38, s22, v38
	s_andn2_b64 exec, exec, s[14:15]
	s_cbranch_execz .LBB11_28
.LBB11_10:                              ; =>This Loop Header: Depth=1
                                        ;     Child Loop BB11_14 Depth 2
	s_and_b64 vcc, exec, s[2:3]
	s_mov_b32 s23, 0
	s_cbranch_vccnz .LBB11_25
; %bb.11:                               ;   in Loop: Header=BB11_10 Depth=1
	v_mov_b32_e32 v39, 0
	v_mov_b32_e32 v42, v37
	;; [unrolled: 1-line block ×5, first 2 shown]
	s_branch .LBB11_14
.LBB11_12:                              ;   in Loop: Header=BB11_14 Depth=2
	s_or_b64 exec, exec, s[16:17]
.LBB11_13:                              ;   in Loop: Header=BB11_14 Depth=2
	s_or_b64 exec, exec, s[4:5]
	s_addk_i32 s23, 0x400
	s_cmp_ge_u32 s23, s6
	v_add_u32_e32 v42, 0x800, v42
	s_cbranch_scc1 .LBB11_26
.LBB11_14:                              ;   Parent Loop BB11_10 Depth=1
                                        ; =>  This Inner Loop Header: Depth=2
	v_add_u32_e32 v34, s23, v36
	v_cmp_gt_u32_e32 vcc, s6, v34
	v_add_u32_e32 v43, 0x200, v34
	s_and_saveexec_b64 s[16:17], vcc
	s_cbranch_execnz .LBB11_17
; %bb.15:                               ;   in Loop: Header=BB11_14 Depth=2
	s_or_b64 exec, exec, s[16:17]
	s_and_saveexec_b64 s[16:17], vcc
	s_cbranch_execnz .LBB11_20
.LBB11_16:                              ;   in Loop: Header=BB11_14 Depth=2
	s_or_b64 exec, exec, s[16:17]
	s_and_saveexec_b64 s[4:5], vcc
	s_cbranch_execz .LBB11_13
	s_branch .LBB11_23
.LBB11_17:                              ;   in Loop: Header=BB11_14 Depth=2
	v_add_u32_e32 v34, s23, v38
	s_waitcnt lgkmcnt(0)
	v_lshl_add_u64 v[44:45], v[34:35], 1, s[8:9]
	v_lshl_add_u64 v[46:47], s[12:13], 1, v[44:45]
	global_load_dwordx4 v[16:19], v[44:45], off nt
	global_load_dwordx4 v[8:11], v[46:47], off nt
	v_cmp_gt_u32_e64 s[4:5], s6, v43
	s_and_saveexec_b64 s[18:19], s[4:5]
	s_cbranch_execz .LBB11_19
; %bb.18:                               ;   in Loop: Header=BB11_14 Depth=2
	v_add_u32_e32 v34, 0x200, v34
	v_lshl_add_u64 v[44:45], v[34:35], 1, s[8:9]
	v_lshl_add_u64 v[46:47], s[12:13], 1, v[44:45]
	global_load_dwordx4 v[12:15], v[44:45], off nt
	global_load_dwordx4 v[4:7], v[46:47], off nt
.LBB11_19:                              ;   in Loop: Header=BB11_14 Depth=2
	s_or_b64 exec, exec, s[18:19]
	s_or_b64 exec, exec, s[16:17]
	s_and_saveexec_b64 s[16:17], vcc
	s_cbranch_execz .LBB11_16
.LBB11_20:                              ;   in Loop: Header=BB11_14 Depth=2
	v_add_u32_e32 v34, s20, v42
	s_waitcnt lgkmcnt(0)
	ds_read_b128 v[24:27], v42
	ds_read_b128 v[20:23], v34
	v_cmp_gt_u32_e64 s[4:5], s6, v43
	s_and_saveexec_b64 s[18:19], s[4:5]
	s_cbranch_execz .LBB11_22
; %bb.21:                               ;   in Loop: Header=BB11_14 Depth=2
	ds_read_b128 v[0:3], v42 offset:1024
	ds_read_b128 v[28:31], v34 offset:1024
.LBB11_22:                              ;   in Loop: Header=BB11_14 Depth=2
	s_or_b64 exec, exec, s[18:19]
	s_or_b64 exec, exec, s[16:17]
	s_and_saveexec_b64 s[4:5], vcc
	s_cbranch_execz .LBB11_13
.LBB11_23:                              ;   in Loop: Header=BB11_14 Depth=2
	s_waitcnt vmcnt(1) lgkmcnt(0)
	;;#ASMSTART
	v_dot2c_f32_f16 v41, v24, v16
	;;#ASMEND
	s_waitcnt vmcnt(0)
	;;#ASMSTART
	v_dot2c_f32_f16 v33, v24, v8
	;;#ASMEND
	;;#ASMSTART
	v_dot2c_f32_f16 v40, v20, v16
	;;#ASMEND
	;; [unrolled: 3-line block ×3, first 2 shown]
	v_cmp_gt_u32_e32 vcc, s6, v43
	;;#ASMSTART
	v_dot2c_f32_f16 v41, v25, v17
	;;#ASMEND
	;;#ASMSTART
	v_dot2c_f32_f16 v33, v25, v9
	;;#ASMEND
	;; [unrolled: 3-line block ×4, first 2 shown]
	s_nop 0
	;;#ASMSTART
	v_dot2c_f32_f16 v41, v26, v18
	;;#ASMEND
	;;#ASMSTART
	v_dot2c_f32_f16 v33, v26, v10
	;;#ASMEND
	;;#ASMSTART
	v_dot2c_f32_f16 v40, v22, v18
	;;#ASMEND
	;;#ASMSTART
	v_dot2c_f32_f16 v39, v22, v10
	;;#ASMEND
	s_nop 0
	;;#ASMSTART
	v_dot2c_f32_f16 v41, v27, v19
	;;#ASMEND
	;;#ASMSTART
	v_dot2c_f32_f16 v33, v27, v11
	;;#ASMEND
	;; [unrolled: 3-line block ×4, first 2 shown]
	s_and_saveexec_b64 s[16:17], vcc
	s_cbranch_execz .LBB11_12
; %bb.24:                               ;   in Loop: Header=BB11_14 Depth=2
	;;#ASMSTART
	v_dot2c_f32_f16 v41, v0, v12
	;;#ASMEND
	;;#ASMSTART
	v_dot2c_f32_f16 v33, v0, v4
	;;#ASMEND
	;;#ASMSTART
	v_dot2c_f32_f16 v40, v28, v12
	;;#ASMEND
	;;#ASMSTART
	v_dot2c_f32_f16 v39, v28, v4
	;;#ASMEND
	s_nop 0
	;;#ASMSTART
	v_dot2c_f32_f16 v41, v1, v13
	;;#ASMEND
	;;#ASMSTART
	v_dot2c_f32_f16 v33, v1, v5
	;;#ASMEND
	;;#ASMSTART
	v_dot2c_f32_f16 v40, v29, v13
	;;#ASMEND
	;;#ASMSTART
	v_dot2c_f32_f16 v39, v29, v5
	;;#ASMEND
	s_nop 0
	;; [unrolled: 13-line block ×3, first 2 shown]
	;;#ASMSTART
	v_dot2c_f32_f16 v41, v3, v15
	;;#ASMEND
	;;#ASMSTART
	v_dot2c_f32_f16 v33, v3, v7
	;;#ASMEND
	;;#ASMSTART
	v_dot2c_f32_f16 v40, v31, v15
	;;#ASMEND
	;;#ASMSTART
	v_dot2c_f32_f16 v39, v31, v7
	;;#ASMEND
	s_branch .LBB11_12
.LBB11_25:                              ;   in Loop: Header=BB11_10 Depth=1
	v_mov_b32_e32 v41, v35
	v_mov_b32_e32 v33, v35
	;; [unrolled: 1-line block ×4, first 2 shown]
.LBB11_26:                              ;   in Loop: Header=BB11_10 Depth=1
	;;#ASMSTART
	s_nop 0
	v_add_f32 v41, v41, v41 row_shr:8 bound_ctrl:0 
	;;#ASMEND
	;;#ASMSTART
	s_nop 0
	v_add_f32 v33, v33, v33 row_shr:8 bound_ctrl:0 
	;;#ASMEND
	;;#ASMSTART
	s_nop 0
	v_add_f32 v40, v40, v40 row_shr:8 bound_ctrl:0 
	;;#ASMEND
	;;#ASMSTART
	s_nop 0
	v_add_f32 v39, v39, v39 row_shr:8 bound_ctrl:0 
	;;#ASMEND
	s_nop 0
	;;#ASMSTART
	s_nop 0
	v_add_f32 v41, v41, v41 row_shr:4 bound_ctrl:0 
	;;#ASMEND
	;;#ASMSTART
	s_nop 0
	v_add_f32 v33, v33, v33 row_shr:4 bound_ctrl:0 
	;;#ASMEND
	;;#ASMSTART
	s_nop 0
	v_add_f32 v40, v40, v40 row_shr:4 bound_ctrl:0 
	;;#ASMEND
	;;#ASMSTART
	s_nop 0
	v_add_f32 v39, v39, v39 row_shr:4 bound_ctrl:0 
	;;#ASMEND
	s_nop 0
	;; [unrolled: 17-line block ×3, first 2 shown]
	;;#ASMSTART
	s_nop 0
	v_add_f32 v41, v41, v41 wave_shr:1 bound_ctrl:0
	;;#ASMEND
	;;#ASMSTART
	s_nop 0
	v_add_f32 v33, v33, v33 wave_shr:1 bound_ctrl:0
	;;#ASMEND
	;; [unrolled: 4-line block ×4, first 2 shown]
	s_nop 0
	;;#ASMSTART
	s_nop 0
	v_add_f32 v41, v41, v41 row_bcast:15 bound_ctrl:0
	;;#ASMEND
	;;#ASMSTART
	s_nop 0
	v_add_f32 v33, v33, v33 row_bcast:15 bound_ctrl:0
	;;#ASMEND
	;; [unrolled: 4-line block ×4, first 2 shown]
	s_nop 0
	;;#ASMSTART
	s_nop 0
	v_add_f32 v41, v41, v41 row_bcast:31 bound_ctrl:0
	;;#ASMEND
	;;#ASMSTART
	s_nop 0
	v_add_f32 v33, v33, v33 row_bcast:31 bound_ctrl:0
	;;#ASMEND
	;; [unrolled: 4-line block ×4, first 2 shown]
	s_and_saveexec_b64 s[4:5], s[0:1]
	s_cbranch_execz .LBB11_9
; %bb.27:                               ;   in Loop: Header=BB11_10 Depth=1
	v_cvt_f16_f32_e32 v34, v41
	v_cvt_f16_f32_e32 v41, v33
	v_mov_b32_e32 v33, v35
	s_waitcnt lgkmcnt(0)
	v_lshl_add_u64 v[42:43], v[32:33], 1, s[10:11]
	v_cvt_f16_f32_e32 v39, v39
	v_pack_b32_f16 v33, v34, v41
	global_store_dword v[42:43], v33, off
	v_cvt_f16_f32_e32 v33, v40
	v_add_u32_e32 v34, s7, v32
	v_lshl_add_u64 v[40:41], v[34:35], 1, s[10:11]
	v_add_u32_e32 v34, 1, v34
	global_store_short v[40:41], v33, off
	v_lshl_add_u64 v[40:41], v[34:35], 1, s[10:11]
	global_store_short v[40:41], v39, off
	s_branch .LBB11_9
.LBB11_28:
	s_endpgm
	.section	.rodata,"a",@progbits
	.p2align	6, 0x0
	.amdhsa_kernel _Z16wvSplitK_hf_sml_I6__halfLi64ELi2ELi16ELi8ELi2ELi2EEviiPKT_S3_PS1_ii
		.amdhsa_group_segment_fixed_size 65536
		.amdhsa_private_segment_fixed_size 0
		.amdhsa_kernarg_size 40
		.amdhsa_user_sgpr_count 2
		.amdhsa_user_sgpr_dispatch_ptr 0
		.amdhsa_user_sgpr_queue_ptr 0
		.amdhsa_user_sgpr_kernarg_segment_ptr 1
		.amdhsa_user_sgpr_dispatch_id 0
		.amdhsa_user_sgpr_kernarg_preload_length 0
		.amdhsa_user_sgpr_kernarg_preload_offset 0
		.amdhsa_user_sgpr_private_segment_size 0
		.amdhsa_uses_dynamic_stack 0
		.amdhsa_enable_private_segment 0
		.amdhsa_system_sgpr_workgroup_id_x 1
		.amdhsa_system_sgpr_workgroup_id_y 0
		.amdhsa_system_sgpr_workgroup_id_z 0
		.amdhsa_system_sgpr_workgroup_info 0
		.amdhsa_system_vgpr_workitem_id 1
		.amdhsa_next_free_vgpr 48
		.amdhsa_next_free_sgpr 24
		.amdhsa_accum_offset 48
		.amdhsa_reserve_vcc 1
		.amdhsa_float_round_mode_32 0
		.amdhsa_float_round_mode_16_64 0
		.amdhsa_float_denorm_mode_32 3
		.amdhsa_float_denorm_mode_16_64 3
		.amdhsa_dx10_clamp 1
		.amdhsa_ieee_mode 1
		.amdhsa_fp16_overflow 0
		.amdhsa_tg_split 0
		.amdhsa_exception_fp_ieee_invalid_op 0
		.amdhsa_exception_fp_denorm_src 0
		.amdhsa_exception_fp_ieee_div_zero 0
		.amdhsa_exception_fp_ieee_overflow 0
		.amdhsa_exception_fp_ieee_underflow 0
		.amdhsa_exception_fp_ieee_inexact 0
		.amdhsa_exception_int_div_zero 0
	.end_amdhsa_kernel
	.section	.text._Z16wvSplitK_hf_sml_I6__halfLi64ELi2ELi16ELi8ELi2ELi2EEviiPKT_S3_PS1_ii,"axG",@progbits,_Z16wvSplitK_hf_sml_I6__halfLi64ELi2ELi16ELi8ELi2ELi2EEviiPKT_S3_PS1_ii,comdat
.Lfunc_end11:
	.size	_Z16wvSplitK_hf_sml_I6__halfLi64ELi2ELi16ELi8ELi2ELi2EEviiPKT_S3_PS1_ii, .Lfunc_end11-_Z16wvSplitK_hf_sml_I6__halfLi64ELi2ELi16ELi8ELi2ELi2EEviiPKT_S3_PS1_ii
                                        ; -- End function
	.section	.AMDGPU.csdata,"",@progbits
; Kernel info:
; codeLenInByte = 1516
; NumSgprs: 30
; NumVgprs: 48
; NumAgprs: 0
; TotalNumVgprs: 48
; ScratchSize: 0
; MemoryBound: 0
; FloatMode: 240
; IeeeMode: 1
; LDSByteSize: 65536 bytes/workgroup (compile time only)
; SGPRBlocks: 3
; VGPRBlocks: 5
; NumSGPRsForWavesPerEU: 30
; NumVGPRsForWavesPerEU: 48
; AccumOffset: 48
; Occupancy: 4
; WaveLimiterHint : 0
; COMPUTE_PGM_RSRC2:SCRATCH_EN: 0
; COMPUTE_PGM_RSRC2:USER_SGPR: 2
; COMPUTE_PGM_RSRC2:TRAP_HANDLER: 0
; COMPUTE_PGM_RSRC2:TGID_X_EN: 1
; COMPUTE_PGM_RSRC2:TGID_Y_EN: 0
; COMPUTE_PGM_RSRC2:TGID_Z_EN: 0
; COMPUTE_PGM_RSRC2:TIDIG_COMP_CNT: 1
; COMPUTE_PGM_RSRC3_GFX90A:ACCUM_OFFSET: 11
; COMPUTE_PGM_RSRC3_GFX90A:TG_SPLIT: 0
	.section	.text._Z12wvSplitK_hf_I6__halfLi64ELi2ELi16ELi8ELi2ELi2EEviiPKT_S3_PS1_ii,"axG",@progbits,_Z12wvSplitK_hf_I6__halfLi64ELi2ELi16ELi8ELi2ELi2EEviiPKT_S3_PS1_ii,comdat
	.protected	_Z12wvSplitK_hf_I6__halfLi64ELi2ELi16ELi8ELi2ELi2EEviiPKT_S3_PS1_ii ; -- Begin function _Z12wvSplitK_hf_I6__halfLi64ELi2ELi16ELi8ELi2ELi2EEviiPKT_S3_PS1_ii
	.globl	_Z12wvSplitK_hf_I6__halfLi64ELi2ELi16ELi8ELi2ELi2EEviiPKT_S3_PS1_ii
	.p2align	8
	.type	_Z12wvSplitK_hf_I6__halfLi64ELi2ELi16ELi8ELi2ELi2EEviiPKT_S3_PS1_ii,@function
_Z12wvSplitK_hf_I6__halfLi64ELi2ELi16ELi8ELi2ELi2EEviiPKT_S3_PS1_ii: ; @_Z12wvSplitK_hf_I6__halfLi64ELi2ELi16ELi8ELi2ELi2EEviiPKT_S3_PS1_ii
; %bb.0:
	s_load_dwordx2 s[4:5], s[0:1], 0x20
	s_load_dwordx2 s[6:7], s[0:1], 0x0
	;; [unrolled: 1-line block ×3, first 2 shown]
	v_bfe_u32 v3, v0, 10, 10
	s_mov_b32 s10, 1
	s_waitcnt lgkmcnt(0)
	s_mul_i32 s2, s2, s4
	v_add_lshl_u32 v34, s2, v3, 1
	v_add_u32_e32 v1, 2, v34
	v_cmp_gt_u32_e32 vcc, s7, v34
	v_cmp_le_u32_e64 s[2:3], s7, v1
	s_mov_b32 s11, s10
	s_and_b64 s[12:13], vcc, s[2:3]
	v_mov_b64_e32 v[32:33], s[10:11]
	s_and_saveexec_b64 s[2:3], s[12:13]
	s_cbranch_execz .LBB12_6
; %bb.1:
	s_add_i32 s18, s7, -2
	v_cmp_ne_u32_e32 vcc, s18, v34
	v_mov_b64_e32 v[32:33], s[10:11]
	s_and_saveexec_b64 s[10:11], vcc
	s_cbranch_execz .LBB12_5
; %bb.2:
	v_subrev_u32_e32 v1, s18, v34
	s_mov_b32 s12, 1
	v_cmp_lt_u32_e32 vcc, 1, v1
	s_mov_b64 s[14:15], 0
	s_mov_b64 s[16:17], 0
	v_cndmask_b32_e32 v2, 1, v1, vcc
	s_mov_b32 s13, s12
.LBB12_3:                               ; =>This Inner Loop Header: Depth=1
	s_cmp_lg_u32 s16, 1
	s_cselect_b32 s13, s13, 0
	s_cmp_lg_u32 s16, 0
	s_cselect_b32 s12, s12, 0
	s_add_u32 s16, s16, 1
	s_addc_u32 s17, s17, 0
	v_cmp_eq_u32_e32 vcc, s16, v2
	s_or_b64 s[14:15], vcc, s[14:15]
	v_mov_b64_e32 v[32:33], s[12:13]
	s_andn2_b64 exec, exec, s[14:15]
	s_cbranch_execnz .LBB12_3
; %bb.4:
	s_or_b64 exec, exec, s[14:15]
	v_mov_b32_e32 v34, s18
.LBB12_5:
	s_or_b64 exec, exec, s[10:11]
.LBB12_6:
	s_or_b64 exec, exec, s[2:3]
	s_lshl_b32 s26, s6, 1
	v_and_b32_e32 v2, 0x3ff, v0
	s_cmp_lg_u32 s6, 0
	v_lshlrev_b32_e32 v36, 3, v2
	s_mov_b32 s14, 0
	s_cselect_b64 s[18:19], -1, 0
	s_cmp_eq_u32 s6, 0
	v_lshlrev_b32_e32 v37, 4, v2
	s_cbranch_scc1 .LBB12_12
; %bb.7:
	v_lshlrev_b32_e32 v0, 4, v2
	s_min_i32 s15, s26, 0x8000
	v_lshl_add_u32 v4, v3, 10, v0
	v_lshl_add_u32 v5, v3, 9, v36
	s_mov_b64 s[2:3], 0
	v_mov_b32_e32 v1, 0
                                        ; implicit-def: $sgpr10_sgpr11
	s_branch .LBB12_9
.LBB12_8:                               ;   in Loop: Header=BB12_9 Depth=1
	s_or_b64 exec, exec, s[12:13]
	s_and_b64 s[12:13], exec, s[10:11]
	s_or_b64 s[2:3], s[12:13], s[2:3]
	s_andn2_b64 exec, exec, s[2:3]
	s_cbranch_execz .LBB12_11
.LBB12_9:                               ; =>This Inner Loop Header: Depth=1
	v_add_u32_e32 v0, s14, v5
	v_cmp_gt_u32_e32 vcc, s15, v0
	s_or_b64 s[10:11], s[10:11], exec
	s_and_saveexec_b64 s[12:13], vcc
	s_cbranch_execz .LBB12_8
; %bb.10:                               ;   in Loop: Header=BB12_9 Depth=1
	v_lshl_add_u64 v[6:7], v[0:1], 1, s[8:9]
	global_load_dwordx4 v[6:9], v[6:7], off
	s_addk_i32 s14, 0x2000
	s_cmp_ge_u32 s14, s15
	s_cselect_b64 s[16:17], -1, 0
	s_andn2_b64 s[10:11], s[10:11], exec
	s_and_b64 s[16:17], s[16:17], exec
	s_or_b64 s[10:11], s[10:11], s[16:17]
	s_waitcnt vmcnt(0)
	ds_write_b128 v4, v[6:9]
	v_add_u32_e32 v4, 0x4000, v4
	s_branch .LBB12_8
.LBB12_11:
	s_or_b64 exec, exec, s[2:3]
.LBB12_12:
	v_cmp_gt_u32_e32 vcc, s4, v3
	v_cmp_gt_u32_e64 s[2:3], s7, v34
	s_and_b64 s[2:3], vcc, s[2:3]
	s_waitcnt lgkmcnt(0)
	s_barrier
	s_and_saveexec_b64 s[10:11], s[2:3]
	s_cbranch_execz .LBB12_66
; %bb.13:
	s_load_dwordx2 s[10:11], s[0:1], 0x8
	s_load_dwordx2 s[12:13], s[0:1], 0x18
	s_mul_i32 s2, s4, s5
	v_cndmask_b32_e64 v0, 0, 1, s[18:19]
	v_cmp_eq_u32_e64 s[0:1], 63, v2
	s_lshl_b32 s27, s2, 1
	s_add_i32 s28, s7, -2
	s_ashr_i32 s15, s6, 31
	s_mov_b32 s14, s6
	v_add_u32_e32 v46, s6, v36
	s_mov_b64 s[16:17], 0
	v_cmp_ne_u32_e64 s[2:3], 1, v0
	v_mov_b32_e32 v39, 0
	s_movk_i32 s29, 0x7fff
                                        ; implicit-def: $vgpr0_vgpr1_vgpr2_vgpr3
                                        ; implicit-def: $vgpr4_vgpr5_vgpr6_vgpr7
                                        ; implicit-def: $vgpr8_vgpr9_vgpr10_vgpr11
                                        ; implicit-def: $vgpr12_vgpr13_vgpr14_vgpr15
                                        ; implicit-def: $vgpr18_vgpr19
                                        ; implicit-def: $vgpr26_vgpr27
                                        ; implicit-def: $vgpr22_vgpr23
                                        ; implicit-def: $vgpr30_vgpr31
	s_branch .LBB12_16
.LBB12_14:                              ;   in Loop: Header=BB12_16 Depth=1
	s_or_b64 exec, exec, s[20:21]
	v_mov_b32_e32 v34, s28
.LBB12_15:                              ;   in Loop: Header=BB12_16 Depth=1
	s_or_b64 exec, exec, s[18:19]
	v_cmp_le_u32_e32 vcc, s7, v34
	s_or_b64 s[16:17], vcc, s[16:17]
	s_andn2_b64 exec, exec, s[16:17]
	s_cbranch_execz .LBB12_66
.LBB12_16:                              ; =>This Loop Header: Depth=1
                                        ;     Child Loop BB12_20 Depth 2
                                        ;     Child Loop BB12_61 Depth 2
	s_and_b64 vcc, exec, s[2:3]
	s_mov_b32 s22, 0
	s_cbranch_vccnz .LBB12_51
; %bb.17:                               ;   in Loop: Header=BB12_16 Depth=1
	v_mad_u64_u32 v[40:41], s[4:5], v34, s6, v[36:37]
	v_mov_b32_e32 v41, 0
	v_mov_b32_e32 v49, v37
	v_mov_b32_e32 v47, 0
	v_mov_b32_e32 v48, 0
	v_mov_b32_e32 v35, 0
	s_branch .LBB12_20
.LBB12_18:                              ;   in Loop: Header=BB12_20 Depth=2
	s_or_b64 exec, exec, s[18:19]
.LBB12_19:                              ;   in Loop: Header=BB12_20 Depth=2
	s_or_b64 exec, exec, s[4:5]
	s_addk_i32 s22, 0x400
	s_cmp_ge_u32 s22, s6
	v_add_u32_e32 v49, 0x800, v49
	s_cbranch_scc1 .LBB12_52
.LBB12_20:                              ;   Parent Loop BB12_16 Depth=1
                                        ; =>  This Inner Loop Header: Depth=2
	v_add_u32_e32 v44, s22, v36
	v_cmp_gt_u32_e32 vcc, s6, v44
	v_add_u32_e32 v42, 0x200, v44
	s_and_saveexec_b64 s[18:19], vcc
	s_cbranch_execnz .LBB12_24
; %bb.21:                               ;   in Loop: Header=BB12_20 Depth=2
	s_or_b64 exec, exec, s[18:19]
	s_and_saveexec_b64 s[18:19], vcc
	s_cbranch_execnz .LBB12_27
.LBB12_22:                              ;   in Loop: Header=BB12_20 Depth=2
	s_or_b64 exec, exec, s[18:19]
	s_and_saveexec_b64 s[18:19], vcc
	s_cbranch_execnz .LBB12_46
.LBB12_23:                              ;   in Loop: Header=BB12_20 Depth=2
	s_or_b64 exec, exec, s[18:19]
	s_and_saveexec_b64 s[4:5], vcc
	s_cbranch_execz .LBB12_19
	s_branch .LBB12_49
.LBB12_24:                              ;   in Loop: Header=BB12_20 Depth=2
	v_add_u32_e32 v38, s22, v40
	s_waitcnt lgkmcnt(0)
	v_lshl_add_u64 v[50:51], v[38:39], 1, s[10:11]
	v_lshl_add_u64 v[52:53], s[14:15], 1, v[50:51]
	global_load_dwordx4 v[12:15], v[50:51], off nt
	global_load_dwordx4 v[4:7], v[52:53], off nt
	v_cmp_gt_u32_e64 s[4:5], s6, v42
	s_and_saveexec_b64 s[20:21], s[4:5]
	s_cbranch_execz .LBB12_26
; %bb.25:                               ;   in Loop: Header=BB12_20 Depth=2
	v_add_u32_e32 v38, 0x200, v38
	v_lshl_add_u64 v[50:51], v[38:39], 1, s[10:11]
	v_lshl_add_u64 v[52:53], s[14:15], 1, v[50:51]
	global_load_dwordx4 v[8:11], v[50:51], off nt
	global_load_dwordx4 v[0:3], v[52:53], off nt
.LBB12_26:                              ;   in Loop: Header=BB12_20 Depth=2
	s_or_b64 exec, exec, s[20:21]
	s_or_b64 exec, exec, s[18:19]
	s_and_saveexec_b64 s[18:19], vcc
	s_cbranch_execz .LBB12_22
.LBB12_27:                              ;   in Loop: Header=BB12_20 Depth=2
	v_cmp_lt_u32_e64 s[4:5], s29, v44
                                        ; implicit-def: $vgpr16_vgpr17
	s_and_saveexec_b64 s[20:21], s[4:5]
	s_xor_b64 s[4:5], exec, s[20:21]
	s_cbranch_execz .LBB12_29
; %bb.28:                               ;   in Loop: Header=BB12_20 Depth=2
	v_mov_b32_e32 v45, v39
	s_waitcnt vmcnt(0) lgkmcnt(0)
	v_lshl_add_u64 v[16:17], v[44:45], 1, s[8:9]
	global_load_dwordx4 v[16:19], v[16:17], off
.LBB12_29:                              ;   in Loop: Header=BB12_20 Depth=2
	s_andn2_saveexec_b64 s[4:5], s[4:5]
	s_cbranch_execz .LBB12_31
; %bb.30:                               ;   in Loop: Header=BB12_20 Depth=2
	s_waitcnt vmcnt(0) lgkmcnt(0)
	ds_read_b128 v[16:19], v49
.LBB12_31:                              ;   in Loop: Header=BB12_20 Depth=2
	s_or_b64 exec, exec, s[4:5]
	v_add_u32_e32 v38, s22, v46
	v_cmp_lt_u32_e64 s[4:5], s29, v38
                                        ; implicit-def: $vgpr24_vgpr25
	s_and_saveexec_b64 s[20:21], s[4:5]
	s_xor_b64 s[4:5], exec, s[20:21]
	s_cbranch_execnz .LBB12_34
; %bb.32:                               ;   in Loop: Header=BB12_20 Depth=2
	s_andn2_saveexec_b64 s[4:5], s[4:5]
	s_cbranch_execnz .LBB12_35
.LBB12_33:                              ;   in Loop: Header=BB12_20 Depth=2
	s_or_b64 exec, exec, s[4:5]
	v_cmp_gt_u32_e64 s[4:5], s6, v42
	s_and_saveexec_b64 s[20:21], s[4:5]
	s_cbranch_execnz .LBB12_36
	s_branch .LBB12_45
.LBB12_34:                              ;   in Loop: Header=BB12_20 Depth=2
	s_waitcnt vmcnt(0) lgkmcnt(0)
	v_lshl_add_u64 v[24:25], v[38:39], 1, s[8:9]
	global_load_dwordx4 v[24:27], v[24:25], off
	s_andn2_saveexec_b64 s[4:5], s[4:5]
	s_cbranch_execz .LBB12_33
.LBB12_35:                              ;   in Loop: Header=BB12_20 Depth=2
	s_waitcnt vmcnt(0) lgkmcnt(0)
	v_add_u32_e32 v24, s26, v49
	ds_read_b128 v[24:27], v24
	s_or_b64 exec, exec, s[4:5]
	v_cmp_gt_u32_e64 s[4:5], s6, v42
	s_and_saveexec_b64 s[20:21], s[4:5]
	s_cbranch_execz .LBB12_45
.LBB12_36:                              ;   in Loop: Header=BB12_20 Depth=2
	v_cmp_lt_u32_e64 s[4:5], s29, v42
                                        ; implicit-def: $vgpr20_vgpr21
	s_and_saveexec_b64 s[24:25], s[4:5]
	s_xor_b64 s[4:5], exec, s[24:25]
	s_cbranch_execz .LBB12_38
; %bb.37:                               ;   in Loop: Header=BB12_20 Depth=2
	v_mov_b32_e32 v43, v39
	s_waitcnt vmcnt(0) lgkmcnt(0)
	v_lshl_add_u64 v[20:21], v[42:43], 1, s[8:9]
	global_load_dwordx4 v[20:23], v[20:21], off
.LBB12_38:                              ;   in Loop: Header=BB12_20 Depth=2
	s_andn2_saveexec_b64 s[4:5], s[4:5]
	s_cbranch_execz .LBB12_40
; %bb.39:                               ;   in Loop: Header=BB12_20 Depth=2
	s_waitcnt vmcnt(0) lgkmcnt(0)
	ds_read_b128 v[20:23], v49 offset:1024
.LBB12_40:                              ;   in Loop: Header=BB12_20 Depth=2
	s_or_b64 exec, exec, s[4:5]
	v_add_u32_e32 v38, 0x200, v38
	v_cmp_lt_u32_e64 s[4:5], s29, v38
                                        ; implicit-def: $vgpr28_vgpr29
	s_and_saveexec_b64 s[24:25], s[4:5]
	s_xor_b64 s[4:5], exec, s[24:25]
	s_cbranch_execz .LBB12_42
; %bb.41:                               ;   in Loop: Header=BB12_20 Depth=2
	s_waitcnt vmcnt(0) lgkmcnt(0)
	v_lshl_add_u64 v[28:29], v[38:39], 1, s[8:9]
	global_load_dwordx4 v[28:31], v[28:29], off
.LBB12_42:                              ;   in Loop: Header=BB12_20 Depth=2
	s_andn2_saveexec_b64 s[4:5], s[4:5]
	s_cbranch_execz .LBB12_44
; %bb.43:                               ;   in Loop: Header=BB12_20 Depth=2
	s_waitcnt vmcnt(0) lgkmcnt(0)
	v_add_u32_e32 v28, s26, v49
	ds_read_b128 v[28:31], v28 offset:1024
.LBB12_44:                              ;   in Loop: Header=BB12_20 Depth=2
	s_or_b64 exec, exec, s[4:5]
.LBB12_45:                              ;   in Loop: Header=BB12_20 Depth=2
	s_or_b64 exec, exec, s[20:21]
	s_or_b64 exec, exec, s[18:19]
	s_and_saveexec_b64 s[18:19], vcc
	s_cbranch_execz .LBB12_23
.LBB12_46:                              ;   in Loop: Header=BB12_20 Depth=2
	s_waitcnt vmcnt(0) lgkmcnt(0)
	;;#ASMSTART
	v_dot2c_f32_f16 v35, v16, v12
	;;#ASMEND
	;;#ASMSTART
	v_dot2c_f32_f16 v48, v16, v4
	;;#ASMEND
	v_cmp_gt_u32_e64 s[4:5], s6, v42
	;;#ASMSTART
	v_dot2c_f32_f16 v35, v17, v13
	;;#ASMEND
	;;#ASMSTART
	v_dot2c_f32_f16 v48, v17, v5
	;;#ASMEND
	s_nop 0
	;;#ASMSTART
	v_dot2c_f32_f16 v35, v18, v14
	;;#ASMEND
	;;#ASMSTART
	v_dot2c_f32_f16 v48, v18, v6
	;;#ASMEND
	s_nop 0
	;;#ASMSTART
	v_dot2c_f32_f16 v35, v19, v15
	;;#ASMEND
	;;#ASMSTART
	v_dot2c_f32_f16 v48, v19, v7
	;;#ASMEND
	s_and_saveexec_b64 s[20:21], s[4:5]
	s_cbranch_execz .LBB12_48
; %bb.47:                               ;   in Loop: Header=BB12_20 Depth=2
	;;#ASMSTART
	v_dot2c_f32_f16 v35, v20, v8
	;;#ASMEND
	;;#ASMSTART
	v_dot2c_f32_f16 v48, v20, v0
	;;#ASMEND
	s_nop 0
	;;#ASMSTART
	v_dot2c_f32_f16 v35, v21, v9
	;;#ASMEND
	;;#ASMSTART
	v_dot2c_f32_f16 v48, v21, v1
	;;#ASMEND
	s_nop 0
	;; [unrolled: 7-line block ×3, first 2 shown]
	;;#ASMSTART
	v_dot2c_f32_f16 v35, v23, v11
	;;#ASMEND
	;;#ASMSTART
	v_dot2c_f32_f16 v48, v23, v3
	;;#ASMEND
.LBB12_48:                              ;   in Loop: Header=BB12_20 Depth=2
	s_or_b64 exec, exec, s[20:21]
	s_or_b64 exec, exec, s[18:19]
	s_and_saveexec_b64 s[4:5], vcc
	s_cbranch_execz .LBB12_19
.LBB12_49:                              ;   in Loop: Header=BB12_20 Depth=2
	s_waitcnt vmcnt(0) lgkmcnt(0)
	;;#ASMSTART
	v_dot2c_f32_f16 v47, v24, v12
	;;#ASMEND
	;;#ASMSTART
	v_dot2c_f32_f16 v41, v24, v4
	;;#ASMEND
	v_cmp_gt_u32_e32 vcc, s6, v42
	;;#ASMSTART
	v_dot2c_f32_f16 v47, v25, v13
	;;#ASMEND
	;;#ASMSTART
	v_dot2c_f32_f16 v41, v25, v5
	;;#ASMEND
	s_nop 0
	;;#ASMSTART
	v_dot2c_f32_f16 v47, v26, v14
	;;#ASMEND
	;;#ASMSTART
	v_dot2c_f32_f16 v41, v26, v6
	;;#ASMEND
	s_nop 0
	;;#ASMSTART
	v_dot2c_f32_f16 v47, v27, v15
	;;#ASMEND
	;;#ASMSTART
	v_dot2c_f32_f16 v41, v27, v7
	;;#ASMEND
	s_and_saveexec_b64 s[18:19], vcc
	s_cbranch_execz .LBB12_18
; %bb.50:                               ;   in Loop: Header=BB12_20 Depth=2
	;;#ASMSTART
	v_dot2c_f32_f16 v47, v28, v8
	;;#ASMEND
	;;#ASMSTART
	v_dot2c_f32_f16 v41, v28, v0
	;;#ASMEND
	s_nop 0
	;;#ASMSTART
	v_dot2c_f32_f16 v47, v29, v9
	;;#ASMEND
	;;#ASMSTART
	v_dot2c_f32_f16 v41, v29, v1
	;;#ASMEND
	s_nop 0
	;; [unrolled: 7-line block ×3, first 2 shown]
	;;#ASMSTART
	v_dot2c_f32_f16 v47, v31, v11
	;;#ASMEND
	;;#ASMSTART
	v_dot2c_f32_f16 v41, v31, v3
	;;#ASMEND
	s_branch .LBB12_18
.LBB12_51:                              ;   in Loop: Header=BB12_16 Depth=1
	v_mov_b32_e32 v35, v39
	v_mov_b32_e32 v48, v39
	;; [unrolled: 1-line block ×4, first 2 shown]
.LBB12_52:                              ;   in Loop: Header=BB12_16 Depth=1
	;;#ASMSTART
	s_nop 0
	v_add_f32 v35, v35, v35 row_shr:8 bound_ctrl:0 
	;;#ASMEND
	;;#ASMSTART
	s_nop 0
	v_add_f32 v48, v48, v48 row_shr:8 bound_ctrl:0 
	;;#ASMEND
	;;#ASMSTART
	s_nop 0
	v_add_f32 v47, v47, v47 row_shr:8 bound_ctrl:0 
	;;#ASMEND
	;;#ASMSTART
	s_nop 0
	v_add_f32 v41, v41, v41 row_shr:8 bound_ctrl:0 
	;;#ASMEND
	s_nop 0
	;;#ASMSTART
	s_nop 0
	v_add_f32 v35, v35, v35 row_shr:4 bound_ctrl:0 
	;;#ASMEND
	;;#ASMSTART
	s_nop 0
	v_add_f32 v48, v48, v48 row_shr:4 bound_ctrl:0 
	;;#ASMEND
	;;#ASMSTART
	s_nop 0
	v_add_f32 v47, v47, v47 row_shr:4 bound_ctrl:0 
	;;#ASMEND
	;;#ASMSTART
	s_nop 0
	v_add_f32 v41, v41, v41 row_shr:4 bound_ctrl:0 
	;;#ASMEND
	s_nop 0
	;; [unrolled: 17-line block ×3, first 2 shown]
	;;#ASMSTART
	s_nop 0
	v_add_f32 v35, v35, v35 wave_shr:1 bound_ctrl:0
	;;#ASMEND
	;;#ASMSTART
	s_nop 0
	v_add_f32 v48, v48, v48 wave_shr:1 bound_ctrl:0
	;;#ASMEND
	;; [unrolled: 4-line block ×4, first 2 shown]
	s_nop 0
	;;#ASMSTART
	s_nop 0
	v_add_f32 v35, v35, v35 row_bcast:15 bound_ctrl:0
	;;#ASMEND
	;;#ASMSTART
	s_nop 0
	v_add_f32 v48, v48, v48 row_bcast:15 bound_ctrl:0
	;;#ASMEND
	;;#ASMSTART
	s_nop 0
	v_add_f32 v47, v47, v47 row_bcast:15 bound_ctrl:0
	;;#ASMEND
	;;#ASMSTART
	s_nop 0
	v_add_f32 v41, v41, v41 row_bcast:15 bound_ctrl:0
	;;#ASMEND
	s_nop 0
	;;#ASMSTART
	s_nop 0
	v_add_f32 v35, v35, v35 row_bcast:31 bound_ctrl:0
	;;#ASMEND
	;;#ASMSTART
	s_nop 0
	v_add_f32 v48, v48, v48 row_bcast:31 bound_ctrl:0
	;;#ASMEND
	;; [unrolled: 4-line block ×4, first 2 shown]
	s_and_saveexec_b64 s[18:19], s[0:1]
	s_cbranch_execz .LBB12_58
; %bb.53:                               ;   in Loop: Header=BB12_16 Depth=1
	v_cmp_ne_u32_e32 vcc, 0, v32
	s_and_saveexec_b64 s[4:5], vcc
	s_cbranch_execnz .LBB12_63
; %bb.54:                               ;   in Loop: Header=BB12_16 Depth=1
	s_or_b64 exec, exec, s[4:5]
	v_cmp_ne_u32_e64 s[4:5], 0, v33
	s_and_saveexec_b64 s[20:21], s[4:5]
	s_cbranch_execnz .LBB12_64
.LBB12_55:                              ;   in Loop: Header=BB12_16 Depth=1
	s_or_b64 exec, exec, s[20:21]
	v_add_u32_e32 v38, s7, v34
	s_and_saveexec_b64 s[20:21], vcc
	s_cbranch_execnz .LBB12_65
.LBB12_56:                              ;   in Loop: Header=BB12_16 Depth=1
	s_or_b64 exec, exec, s[20:21]
	s_and_b64 exec, exec, s[4:5]
	s_cbranch_execz .LBB12_58
.LBB12_57:                              ;   in Loop: Header=BB12_16 Depth=1
	v_cvt_f16_f32_e32 v35, v41
	v_add_u32_e32 v38, 1, v38
	s_waitcnt lgkmcnt(0)
	v_lshl_add_u64 v[40:41], v[38:39], 1, s[12:13]
	global_store_short v[40:41], v35, off
.LBB12_58:                              ;   in Loop: Header=BB12_16 Depth=1
	s_or_b64 exec, exec, s[18:19]
	v_add_u32_e32 v34, s27, v34
	v_add_u32_e32 v35, 2, v34
	v_cmp_gt_u32_e32 vcc, s7, v34
	v_cmp_le_u32_e64 s[4:5], s7, v35
	s_and_b64 s[4:5], vcc, s[4:5]
	s_and_saveexec_b64 s[18:19], s[4:5]
	s_cbranch_execz .LBB12_15
; %bb.59:                               ;   in Loop: Header=BB12_16 Depth=1
	v_cmp_ne_u32_e32 vcc, s28, v34
	s_and_saveexec_b64 s[20:21], vcc
	s_cbranch_execz .LBB12_14
; %bb.60:                               ;   in Loop: Header=BB12_16 Depth=1
	v_subrev_u32_e32 v34, s28, v34
	v_cmp_lt_u32_e32 vcc, 1, v34
	s_mov_b64 s[22:23], 0
	s_mov_b64 s[24:25], 0
	v_cndmask_b32_e32 v34, 1, v34, vcc
.LBB12_61:                              ;   Parent Loop BB12_16 Depth=1
                                        ; =>  This Inner Loop Header: Depth=2
	s_cmp_lg_u32 s24, 1
	s_cselect_b64 vcc, -1, 0
	s_cmp_lg_u32 s24, 0
	v_cndmask_b32_e32 v33, 0, v33, vcc
	s_cselect_b64 vcc, -1, 0
	s_add_u32 s24, s24, 1
	s_addc_u32 s25, s25, 0
	v_cmp_eq_u32_e64 s[4:5], s24, v34
	s_or_b64 s[22:23], s[4:5], s[22:23]
	v_cndmask_b32_e32 v32, 0, v32, vcc
	s_andn2_b64 exec, exec, s[22:23]
	s_cbranch_execnz .LBB12_61
; %bb.62:                               ;   in Loop: Header=BB12_16 Depth=1
	s_or_b64 exec, exec, s[22:23]
	s_branch .LBB12_14
.LBB12_63:                              ;   in Loop: Header=BB12_16 Depth=1
	v_cvt_f16_f32_e32 v38, v35
	v_mov_b32_e32 v35, v39
	s_waitcnt lgkmcnt(0)
	v_lshl_add_u64 v[42:43], v[34:35], 1, s[12:13]
	global_store_short v[42:43], v38, off
	s_or_b64 exec, exec, s[4:5]
	v_cmp_ne_u32_e64 s[4:5], 0, v33
	s_and_saveexec_b64 s[20:21], s[4:5]
	s_cbranch_execz .LBB12_55
.LBB12_64:                              ;   in Loop: Header=BB12_16 Depth=1
	v_cvt_f16_f32_e32 v35, v48
	v_add_u32_e32 v38, 1, v34
	s_waitcnt lgkmcnt(0)
	v_lshl_add_u64 v[42:43], v[38:39], 1, s[12:13]
	global_store_short v[42:43], v35, off
	s_or_b64 exec, exec, s[20:21]
	v_add_u32_e32 v38, s7, v34
	s_and_saveexec_b64 s[20:21], vcc
	s_cbranch_execz .LBB12_56
.LBB12_65:                              ;   in Loop: Header=BB12_16 Depth=1
	v_cvt_f16_f32_e32 v35, v47
	s_waitcnt lgkmcnt(0)
	v_lshl_add_u64 v[42:43], v[38:39], 1, s[12:13]
	global_store_short v[42:43], v35, off
	s_or_b64 exec, exec, s[20:21]
	s_and_b64 exec, exec, s[4:5]
	s_cbranch_execnz .LBB12_57
	s_branch .LBB12_58
.LBB12_66:
	s_endpgm
	.section	.rodata,"a",@progbits
	.p2align	6, 0x0
	.amdhsa_kernel _Z12wvSplitK_hf_I6__halfLi64ELi2ELi16ELi8ELi2ELi2EEviiPKT_S3_PS1_ii
		.amdhsa_group_segment_fixed_size 65536
		.amdhsa_private_segment_fixed_size 0
		.amdhsa_kernarg_size 40
		.amdhsa_user_sgpr_count 2
		.amdhsa_user_sgpr_dispatch_ptr 0
		.amdhsa_user_sgpr_queue_ptr 0
		.amdhsa_user_sgpr_kernarg_segment_ptr 1
		.amdhsa_user_sgpr_dispatch_id 0
		.amdhsa_user_sgpr_kernarg_preload_length 0
		.amdhsa_user_sgpr_kernarg_preload_offset 0
		.amdhsa_user_sgpr_private_segment_size 0
		.amdhsa_uses_dynamic_stack 0
		.amdhsa_enable_private_segment 0
		.amdhsa_system_sgpr_workgroup_id_x 1
		.amdhsa_system_sgpr_workgroup_id_y 0
		.amdhsa_system_sgpr_workgroup_id_z 0
		.amdhsa_system_sgpr_workgroup_info 0
		.amdhsa_system_vgpr_workitem_id 1
		.amdhsa_next_free_vgpr 54
		.amdhsa_next_free_sgpr 30
		.amdhsa_accum_offset 56
		.amdhsa_reserve_vcc 1
		.amdhsa_float_round_mode_32 0
		.amdhsa_float_round_mode_16_64 0
		.amdhsa_float_denorm_mode_32 3
		.amdhsa_float_denorm_mode_16_64 3
		.amdhsa_dx10_clamp 1
		.amdhsa_ieee_mode 1
		.amdhsa_fp16_overflow 0
		.amdhsa_tg_split 0
		.amdhsa_exception_fp_ieee_invalid_op 0
		.amdhsa_exception_fp_denorm_src 0
		.amdhsa_exception_fp_ieee_div_zero 0
		.amdhsa_exception_fp_ieee_overflow 0
		.amdhsa_exception_fp_ieee_underflow 0
		.amdhsa_exception_fp_ieee_inexact 0
		.amdhsa_exception_int_div_zero 0
	.end_amdhsa_kernel
	.section	.text._Z12wvSplitK_hf_I6__halfLi64ELi2ELi16ELi8ELi2ELi2EEviiPKT_S3_PS1_ii,"axG",@progbits,_Z12wvSplitK_hf_I6__halfLi64ELi2ELi16ELi8ELi2ELi2EEviiPKT_S3_PS1_ii,comdat
.Lfunc_end12:
	.size	_Z12wvSplitK_hf_I6__halfLi64ELi2ELi16ELi8ELi2ELi2EEviiPKT_S3_PS1_ii, .Lfunc_end12-_Z12wvSplitK_hf_I6__halfLi64ELi2ELi16ELi8ELi2ELi2EEviiPKT_S3_PS1_ii
                                        ; -- End function
	.section	.AMDGPU.csdata,"",@progbits
; Kernel info:
; codeLenInByte = 2252
; NumSgprs: 36
; NumVgprs: 54
; NumAgprs: 0
; TotalNumVgprs: 54
; ScratchSize: 0
; MemoryBound: 1
; FloatMode: 240
; IeeeMode: 1
; LDSByteSize: 65536 bytes/workgroup (compile time only)
; SGPRBlocks: 4
; VGPRBlocks: 6
; NumSGPRsForWavesPerEU: 36
; NumVGPRsForWavesPerEU: 54
; AccumOffset: 56
; Occupancy: 4
; WaveLimiterHint : 0
; COMPUTE_PGM_RSRC2:SCRATCH_EN: 0
; COMPUTE_PGM_RSRC2:USER_SGPR: 2
; COMPUTE_PGM_RSRC2:TRAP_HANDLER: 0
; COMPUTE_PGM_RSRC2:TGID_X_EN: 1
; COMPUTE_PGM_RSRC2:TGID_Y_EN: 0
; COMPUTE_PGM_RSRC2:TGID_Z_EN: 0
; COMPUTE_PGM_RSRC2:TIDIG_COMP_CNT: 1
; COMPUTE_PGM_RSRC3_GFX90A:ACCUM_OFFSET: 13
; COMPUTE_PGM_RSRC3_GFX90A:TG_SPLIT: 0
	.section	.text._Z16wvSplitK_hf_big_I6__halfLi64ELi2ELi16ELi8ELi2ELi2EEviiPKT_S3_PS1_ii,"axG",@progbits,_Z16wvSplitK_hf_big_I6__halfLi64ELi2ELi16ELi8ELi2ELi2EEviiPKT_S3_PS1_ii,comdat
	.protected	_Z16wvSplitK_hf_big_I6__halfLi64ELi2ELi16ELi8ELi2ELi2EEviiPKT_S3_PS1_ii ; -- Begin function _Z16wvSplitK_hf_big_I6__halfLi64ELi2ELi16ELi8ELi2ELi2EEviiPKT_S3_PS1_ii
	.globl	_Z16wvSplitK_hf_big_I6__halfLi64ELi2ELi16ELi8ELi2ELi2EEviiPKT_S3_PS1_ii
	.p2align	8
	.type	_Z16wvSplitK_hf_big_I6__halfLi64ELi2ELi16ELi8ELi2ELi2EEviiPKT_S3_PS1_ii,@function
_Z16wvSplitK_hf_big_I6__halfLi64ELi2ELi16ELi8ELi2ELi2EEviiPKT_S3_PS1_ii: ; @_Z16wvSplitK_hf_big_I6__halfLi64ELi2ELi16ELi8ELi2ELi2EEviiPKT_S3_PS1_ii
; %bb.0:
	s_load_dwordx2 s[4:5], s[0:1], 0x20
	v_bfe_u32 v1, v0, 10, 10
	s_waitcnt lgkmcnt(0)
	v_cmp_gt_u32_e32 vcc, s4, v1
	s_and_saveexec_b64 s[6:7], vcc
	s_cbranch_execz .LBB13_55
; %bb.1:
	s_load_dwordx2 s[10:11], s[0:1], 0x0
	s_mul_i32 s2, s2, s4
	v_add_lshl_u32 v34, s2, v1, 1
	s_mov_b32 s6, 1
	v_add_u32_e32 v2, 2, v34
	s_waitcnt lgkmcnt(0)
	v_cmp_gt_u32_e32 vcc, s11, v34
	v_cmp_le_u32_e64 s[2:3], s11, v2
	s_mov_b32 s7, s6
	s_and_b64 s[8:9], vcc, s[2:3]
	v_mov_b64_e32 v[32:33], s[6:7]
	s_and_saveexec_b64 s[2:3], s[8:9]
	s_cbranch_execz .LBB13_7
; %bb.2:
	s_add_i32 s16, s11, -2
	v_cmp_ne_u32_e32 vcc, s16, v34
	v_mov_b64_e32 v[32:33], s[6:7]
	s_and_saveexec_b64 s[6:7], vcc
	s_cbranch_execz .LBB13_6
; %bb.3:
	v_subrev_u32_e32 v2, s16, v34
	s_mov_b32 s8, 1
	v_cmp_lt_u32_e32 vcc, 1, v2
	s_mov_b64 s[12:13], 0
	s_mov_b64 s[14:15], 0
	v_cndmask_b32_e32 v2, 1, v2, vcc
	s_mov_b32 s9, s8
.LBB13_4:                               ; =>This Inner Loop Header: Depth=1
	s_cmp_lg_u32 s14, 1
	s_cselect_b32 s9, s9, 0
	s_cmp_lg_u32 s14, 0
	s_cselect_b32 s8, s8, 0
	s_add_u32 s14, s14, 1
	s_addc_u32 s15, s15, 0
	v_cmp_eq_u32_e32 vcc, s14, v2
	s_or_b64 s[12:13], vcc, s[12:13]
	v_mov_b64_e32 v[32:33], s[8:9]
	s_andn2_b64 exec, exec, s[12:13]
	s_cbranch_execnz .LBB13_4
; %bb.5:
	s_or_b64 exec, exec, s[12:13]
	v_mov_b32_e32 v34, s16
.LBB13_6:
	s_or_b64 exec, exec, s[6:7]
.LBB13_7:
	s_or_b64 exec, exec, s[2:3]
	s_lshl_b32 s2, s4, 1
	s_abs_i32 s3, s2
	v_cvt_f32_u32_e32 v2, s3
	s_sub_i32 s8, 0, s3
	s_abs_i32 s7, s11
	s_ashr_i32 s6, s11, 31
	v_rcp_iflag_f32_e32 v2, v2
	s_nop 0
	v_mul_f32_e32 v2, 0x4f7ffffe, v2
	v_cvt_u32_f32_e32 v2, v2
	s_nop 0
	v_readfirstlane_b32 s9, v2
	s_mul_i32 s8, s8, s9
	s_mul_hi_u32 s8, s9, s8
	s_add_i32 s9, s9, s8
	s_mul_hi_u32 s8, s7, s9
	s_mul_i32 s8, s8, s3
	s_sub_i32 s7, s7, s8
	s_sub_i32 s8, s7, s3
	s_cmp_ge_u32 s7, s3
	s_cselect_b32 s7, s8, s7
	s_sub_i32 s8, s7, s3
	s_cmp_ge_u32 s7, s3
	s_cselect_b32 s3, s8, s7
	s_xor_b32 s3, s3, s6
	s_sub_i32 s3, s3, s6
	s_add_i32 s2, s2, s11
	s_sub_i32 s2, s2, s3
	s_cmp_eq_u32 s3, 0
	s_cselect_b32 s33, s11, s2
	v_cmp_gt_u32_e32 vcc, s33, v34
	s_and_b64 exec, exec, vcc
	s_cbranch_execz .LBB13_55
; %bb.8:
	s_mov_b32 s2, 0
	s_load_dwordx4 s[12:15], s[0:1], 0x8
	s_load_dwordx2 s[16:17], s[0:1], 0x18
	v_cvt_f64_i32_e32 v[2:3], s10
	s_mov_b32 s3, 0x40d00000
	v_min_f64 v[2:3], v[2:3], s[2:3]
	s_cmp_lg_u32 s10, 0
	v_and_b32_e32 v0, 0x3ff, v0
	s_mul_i32 s0, s5, s4
	v_cvt_u32_f64_e32 v2, v[2:3]
	v_lshlrev_b32_e32 v38, 3, v0
	s_cselect_b64 s[2:3], -1, 0
	s_lshl_b32 s36, s0, 1
	v_cmp_eq_u32_e64 s[0:1], 63, v0
	v_lshlrev_b32_e32 v0, 4, v0
	s_lshl_b32 s35, s4, 9
	s_add_i32 s37, s11, -2
	s_ashr_i32 s19, s10, 31
	v_lshl_add_u32 v40, v1, 10, v0
	v_cndmask_b32_e64 v0, 0, 1, s[2:3]
	v_cmp_ne_u32_e32 vcc, 0, v2
	s_waitcnt lgkmcnt(0)
	s_add_u32 s20, s16, 2
	v_lshl_add_u32 v41, v1, 9, v38
	v_cmp_ne_u32_e64 s[2:3], 1, v0
	v_cndmask_b32_e64 v0, 0, 1, vcc
	v_readfirstlane_b32 s34, v2
	s_mov_b32 s18, s10
	s_addc_u32 s21, s17, 0
	v_lshlrev_b32_e32 v39, 1, v2
	s_lshl_b32 s38, s4, 10
	v_add_u32_e32 v42, s10, v41
	s_mov_b64 s[22:23], 0
	v_cmp_ne_u32_e64 s[4:5], 1, v0
	v_mov_b32_e32 v37, 0
                                        ; implicit-def: $vgpr0_vgpr1_vgpr2_vgpr3
                                        ; implicit-def: $vgpr12_vgpr13_vgpr14_vgpr15
                                        ; implicit-def: $vgpr8_vgpr9_vgpr10_vgpr11
                                        ; implicit-def: $vgpr16_vgpr17_vgpr18_vgpr19
                                        ; implicit-def: $vgpr30_vgpr31
                                        ; implicit-def: $vgpr6_vgpr7
                                        ; implicit-def: $vgpr22_vgpr23
                                        ; implicit-def: $vgpr26_vgpr27
	s_branch .LBB13_12
.LBB13_9:                               ;   in Loop: Header=BB13_12 Depth=1
	s_or_b64 exec, exec, s[26:27]
	v_mov_b32_e32 v34, s37
.LBB13_10:                              ;   in Loop: Header=BB13_12 Depth=1
	s_or_b64 exec, exec, s[24:25]
.LBB13_11:                              ;   in Loop: Header=BB13_12 Depth=1
	s_or_b64 exec, exec, s[8:9]
	v_cmp_le_u32_e32 vcc, s33, v34
	s_or_b64 s[22:23], vcc, s[22:23]
	s_andn2_b64 exec, exec, s[22:23]
	s_cbranch_execz .LBB13_55
.LBB13_12:                              ; =>This Loop Header: Depth=1
                                        ;     Child Loop BB13_17 Depth 2
                                        ;       Child Loop BB13_21 Depth 3
                                        ;     Child Loop BB13_50 Depth 2
	s_and_b64 vcc, exec, s[2:3]
	s_mov_b32 s30, 0
	s_cbranch_vccnz .LBB13_37
; %bb.13:                               ;   in Loop: Header=BB13_12 Depth=1
	v_cmp_gt_u32_e64 s[6:7], s11, v34
	v_mul_lo_u32 v46, v34, s10
	v_mov_b32_e32 v43, 0
	v_mov_b32_e32 v44, 0
	;; [unrolled: 1-line block ×4, first 2 shown]
	s_mov_b32 s31, 0
	s_branch .LBB13_17
.LBB13_14:                              ;   in Loop: Header=BB13_17 Depth=2
	s_or_b64 exec, exec, s[26:27]
.LBB13_15:                              ;   in Loop: Header=BB13_17 Depth=2
	s_or_b64 exec, exec, s[8:9]
.LBB13_16:                              ;   in Loop: Header=BB13_17 Depth=2
	s_or_b64 exec, exec, s[24:25]
	s_addk_i32 s31, 0x400
	s_cmp_ge_u32 s31, s10
	s_cbranch_scc1 .LBB13_38
.LBB13_17:                              ;   Parent Loop BB13_12 Depth=1
                                        ; =>  This Loop Header: Depth=2
                                        ;       Child Loop BB13_21 Depth 3
	s_cmp_eq_u32 s31, 0
	s_cselect_b64 s[8:9], -1, 0
	s_add_i32 s24, s30, s34
	s_cmp_eq_u32 s31, s24
	s_cselect_b64 s[26:27], -1, 0
	s_or_b64 s[26:27], s[8:9], s[26:27]
	s_andn2_b64 vcc, exec, s[26:27]
	s_cbranch_vccnz .LBB13_25
; %bb.18:                               ;   in Loop: Header=BB13_17 Depth=2
	s_and_b64 s[8:9], s[8:9], exec
	s_cselect_b32 s30, s30, s24
	s_and_b64 vcc, exec, s[4:5]
	s_barrier
	s_cbranch_vccnz .LBB13_24
; %bb.19:                               ;   in Loop: Header=BB13_17 Depth=2
	v_add_u32_e32 v47, s30, v42
	v_add_u32_e32 v48, s30, v41
	s_mov_b32 s28, 0
	s_mov_b64 s[24:25], 0
	v_mov_b32_e32 v49, v40
                                        ; implicit-def: $sgpr26_sgpr27
	s_branch .LBB13_21
.LBB13_20:                              ;   in Loop: Header=BB13_21 Depth=3
	s_or_b64 exec, exec, s[8:9]
	s_and_b64 s[8:9], exec, s[26:27]
	s_or_b64 s[24:25], s[8:9], s[24:25]
	s_andn2_b64 exec, exec, s[24:25]
	s_cbranch_execz .LBB13_23
.LBB13_21:                              ;   Parent Loop BB13_12 Depth=1
                                        ;     Parent Loop BB13_17 Depth=2
                                        ; =>    This Inner Loop Header: Depth=3
	v_add_u32_e32 v50, s28, v41
	v_add_u32_e32 v36, s28, v48
	v_cmp_gt_u32_e32 vcc, s10, v36
	v_cmp_gt_u32_e64 s[8:9], s34, v50
	s_and_b64 s[40:41], vcc, s[8:9]
	s_or_b64 s[26:27], s[26:27], exec
	s_and_saveexec_b64 s[8:9], s[40:41]
	s_cbranch_execz .LBB13_20
; %bb.22:                               ;   in Loop: Header=BB13_21 Depth=3
	v_lshl_add_u64 v[50:51], v[36:37], 1, s[14:15]
	v_add_u32_e32 v36, s28, v47
	global_load_dwordx4 v[50:53], v[50:51], off
	v_lshl_add_u64 v[54:55], v[36:37], 1, s[14:15]
	global_load_dwordx4 v[54:57], v[54:55], off
	s_add_i32 s28, s28, s35
	s_cmp_ge_u32 s28, s34
	s_cselect_b64 s[40:41], -1, 0
	s_andn2_b64 s[26:27], s[26:27], exec
	s_and_b64 s[40:41], s[40:41], exec
	v_add_u32_e32 v36, v49, v39
	s_or_b64 s[26:27], s[26:27], s[40:41]
	s_waitcnt vmcnt(1)
	ds_write_b128 v49, v[50:53]
	v_add_u32_e32 v49, s38, v49
	s_waitcnt vmcnt(0)
	ds_write2_b64 v36, v[54:55], v[56:57] offset1:1
	s_branch .LBB13_20
.LBB13_23:                              ;   in Loop: Header=BB13_17 Depth=2
	s_or_b64 exec, exec, s[24:25]
.LBB13_24:                              ;   in Loop: Header=BB13_17 Depth=2
	s_waitcnt lgkmcnt(0)
	s_barrier
.LBB13_25:                              ;   in Loop: Header=BB13_17 Depth=2
	s_and_saveexec_b64 s[24:25], s[6:7]
	s_cbranch_execz .LBB13_16
; %bb.26:                               ;   in Loop: Header=BB13_17 Depth=2
	v_add_u32_e32 v47, s31, v38
	v_cmp_gt_u32_e32 vcc, s10, v47
	s_and_saveexec_b64 s[26:27], vcc
	s_cbranch_execnz .LBB13_29
; %bb.27:                               ;   in Loop: Header=BB13_17 Depth=2
	s_or_b64 exec, exec, s[26:27]
	s_and_saveexec_b64 s[26:27], vcc
	s_cbranch_execnz .LBB13_32
.LBB13_28:                              ;   in Loop: Header=BB13_17 Depth=2
	s_or_b64 exec, exec, s[26:27]
	s_and_saveexec_b64 s[8:9], vcc
	s_cbranch_execz .LBB13_15
	s_branch .LBB13_35
.LBB13_29:                              ;   in Loop: Header=BB13_17 Depth=2
	v_add_u32_e32 v36, v47, v46
	v_lshl_add_u64 v[48:49], v[36:37], 1, s[12:13]
	v_lshl_add_u64 v[50:51], s[18:19], 1, v[48:49]
	global_load_dwordx4 v[16:19], v[48:49], off nt
	global_load_dwordx4 v[12:15], v[50:51], off nt
	v_add_u32_e32 v36, 0x200, v47
	v_cmp_gt_u32_e64 s[8:9], s10, v36
	s_and_saveexec_b64 s[28:29], s[8:9]
	s_cbranch_execz .LBB13_31
; %bb.30:                               ;   in Loop: Header=BB13_17 Depth=2
	v_add_u32_e32 v36, v36, v46
	v_lshl_add_u64 v[48:49], v[36:37], 1, s[12:13]
	v_lshl_add_u64 v[50:51], s[18:19], 1, v[48:49]
	global_load_dwordx4 v[8:11], v[48:49], off nt
	global_load_dwordx4 v[0:3], v[50:51], off nt
.LBB13_31:                              ;   in Loop: Header=BB13_17 Depth=2
	s_or_b64 exec, exec, s[28:29]
	s_or_b64 exec, exec, s[26:27]
	s_and_saveexec_b64 s[26:27], vcc
	s_cbranch_execz .LBB13_28
.LBB13_32:                              ;   in Loop: Header=BB13_17 Depth=2
	s_waitcnt lgkmcnt(0)
	v_subrev_u32_e32 v20, s30, v47
	v_lshlrev_b32_e32 v48, 1, v20
	v_lshl_add_u32 v36, s34, 1, v48
	ds_read_b128 v[24:27], v48
	ds_read_b128 v[20:23], v36
	v_add_u32_e32 v49, 0x200, v47
	v_cmp_gt_u32_e64 s[8:9], s10, v49
	s_and_saveexec_b64 s[28:29], s[8:9]
	s_cbranch_execz .LBB13_34
; %bb.33:                               ;   in Loop: Header=BB13_17 Depth=2
	ds_read_b128 v[4:7], v48 offset:1024
	ds_read_b128 v[28:31], v36 offset:1024
.LBB13_34:                              ;   in Loop: Header=BB13_17 Depth=2
	s_or_b64 exec, exec, s[28:29]
	s_or_b64 exec, exec, s[26:27]
	s_and_saveexec_b64 s[8:9], vcc
	s_cbranch_execz .LBB13_15
.LBB13_35:                              ;   in Loop: Header=BB13_17 Depth=2
	s_waitcnt vmcnt(1) lgkmcnt(1)
	;;#ASMSTART
	v_dot2c_f32_f16 v35, v24, v16
	;;#ASMEND
	s_waitcnt vmcnt(0)
	;;#ASMSTART
	v_dot2c_f32_f16 v45, v24, v12
	;;#ASMEND
	s_waitcnt lgkmcnt(0)
	;;#ASMSTART
	v_dot2c_f32_f16 v44, v20, v16
	;;#ASMEND
	;;#ASMSTART
	v_dot2c_f32_f16 v43, v20, v12
	;;#ASMEND
	v_add_u32_e32 v36, 0x200, v47
	;;#ASMSTART
	v_dot2c_f32_f16 v35, v25, v17
	;;#ASMEND
	;;#ASMSTART
	v_dot2c_f32_f16 v45, v25, v13
	;;#ASMEND
	;; [unrolled: 3-line block ×4, first 2 shown]
	v_cmp_gt_u32_e32 vcc, s10, v36
	;;#ASMSTART
	v_dot2c_f32_f16 v35, v26, v18
	;;#ASMEND
	;;#ASMSTART
	v_dot2c_f32_f16 v45, v26, v14
	;;#ASMEND
	;; [unrolled: 3-line block ×4, first 2 shown]
	s_nop 0
	;;#ASMSTART
	v_dot2c_f32_f16 v35, v27, v19
	;;#ASMEND
	;;#ASMSTART
	v_dot2c_f32_f16 v45, v27, v15
	;;#ASMEND
	;; [unrolled: 3-line block ×4, first 2 shown]
	s_and_saveexec_b64 s[26:27], vcc
	s_cbranch_execz .LBB13_14
; %bb.36:                               ;   in Loop: Header=BB13_17 Depth=2
	;;#ASMSTART
	v_dot2c_f32_f16 v35, v4, v8
	;;#ASMEND
	;;#ASMSTART
	v_dot2c_f32_f16 v45, v4, v0
	;;#ASMEND
	;;#ASMSTART
	v_dot2c_f32_f16 v44, v28, v8
	;;#ASMEND
	;;#ASMSTART
	v_dot2c_f32_f16 v43, v28, v0
	;;#ASMEND
	s_nop 0
	;;#ASMSTART
	v_dot2c_f32_f16 v35, v5, v9
	;;#ASMEND
	;;#ASMSTART
	v_dot2c_f32_f16 v45, v5, v1
	;;#ASMEND
	;;#ASMSTART
	v_dot2c_f32_f16 v44, v29, v9
	;;#ASMEND
	;;#ASMSTART
	v_dot2c_f32_f16 v43, v29, v1
	;;#ASMEND
	s_nop 0
	;; [unrolled: 13-line block ×3, first 2 shown]
	;;#ASMSTART
	v_dot2c_f32_f16 v35, v7, v11
	;;#ASMEND
	;;#ASMSTART
	v_dot2c_f32_f16 v45, v7, v3
	;;#ASMEND
	;; [unrolled: 3-line block ×4, first 2 shown]
	s_branch .LBB13_14
.LBB13_37:                              ;   in Loop: Header=BB13_12 Depth=1
	v_mov_b32_e32 v35, v37
	v_mov_b32_e32 v45, v37
	;; [unrolled: 1-line block ×4, first 2 shown]
.LBB13_38:                              ;   in Loop: Header=BB13_12 Depth=1
	v_cmp_le_u32_e32 vcc, s11, v34
	s_and_saveexec_b64 s[6:7], vcc
	s_xor_b64 s[6:7], exec, s[6:7]
; %bb.39:                               ;   in Loop: Header=BB13_12 Depth=1
	v_add_u32_e32 v34, s36, v34
                                        ; implicit-def: $vgpr35
                                        ; implicit-def: $vgpr45
                                        ; implicit-def: $vgpr44
                                        ; implicit-def: $vgpr43
; %bb.40:                               ;   in Loop: Header=BB13_12 Depth=1
	s_andn2_saveexec_b64 s[8:9], s[6:7]
	s_cbranch_execz .LBB13_11
; %bb.41:                               ;   in Loop: Header=BB13_12 Depth=1
	;;#ASMSTART
	s_nop 0
	v_add_f32 v35, v35, v35 row_shr:8 bound_ctrl:0 
	;;#ASMEND
	;;#ASMSTART
	s_nop 0
	v_add_f32 v45, v45, v45 row_shr:8 bound_ctrl:0 
	;;#ASMEND
	;;#ASMSTART
	s_nop 0
	v_add_f32 v44, v44, v44 row_shr:8 bound_ctrl:0 
	;;#ASMEND
	;;#ASMSTART
	s_nop 0
	v_add_f32 v43, v43, v43 row_shr:8 bound_ctrl:0 
	;;#ASMEND
	s_nop 0
	;;#ASMSTART
	s_nop 0
	v_add_f32 v35, v35, v35 row_shr:4 bound_ctrl:0 
	;;#ASMEND
	;;#ASMSTART
	s_nop 0
	v_add_f32 v45, v45, v45 row_shr:4 bound_ctrl:0 
	;;#ASMEND
	;;#ASMSTART
	s_nop 0
	v_add_f32 v44, v44, v44 row_shr:4 bound_ctrl:0 
	;;#ASMEND
	;;#ASMSTART
	s_nop 0
	v_add_f32 v43, v43, v43 row_shr:4 bound_ctrl:0 
	;;#ASMEND
	s_nop 0
	;; [unrolled: 17-line block ×3, first 2 shown]
	;;#ASMSTART
	s_nop 0
	v_add_f32 v35, v35, v35 wave_shr:1 bound_ctrl:0
	;;#ASMEND
	;;#ASMSTART
	s_nop 0
	v_add_f32 v45, v45, v45 wave_shr:1 bound_ctrl:0
	;;#ASMEND
	;; [unrolled: 4-line block ×4, first 2 shown]
	s_nop 0
	;;#ASMSTART
	s_nop 0
	v_add_f32 v35, v35, v35 row_bcast:15 bound_ctrl:0
	;;#ASMEND
	;;#ASMSTART
	s_nop 0
	v_add_f32 v45, v45, v45 row_bcast:15 bound_ctrl:0
	;;#ASMEND
	;;#ASMSTART
	s_nop 0
	v_add_f32 v44, v44, v44 row_bcast:15 bound_ctrl:0
	;;#ASMEND
	;;#ASMSTART
	s_nop 0
	v_add_f32 v43, v43, v43 row_bcast:15 bound_ctrl:0
	;;#ASMEND
	s_nop 0
	;;#ASMSTART
	s_nop 0
	v_add_f32 v35, v35, v35 row_bcast:31 bound_ctrl:0
	;;#ASMEND
	;;#ASMSTART
	s_nop 0
	v_add_f32 v45, v45, v45 row_bcast:31 bound_ctrl:0
	;;#ASMEND
	;; [unrolled: 4-line block ×4, first 2 shown]
	s_and_saveexec_b64 s[24:25], s[0:1]
	s_cbranch_execz .LBB13_47
; %bb.42:                               ;   in Loop: Header=BB13_12 Depth=1
	v_cmp_ne_u32_e32 vcc, 0, v32
	s_and_saveexec_b64 s[6:7], vcc
	s_cbranch_execnz .LBB13_52
; %bb.43:                               ;   in Loop: Header=BB13_12 Depth=1
	s_or_b64 exec, exec, s[6:7]
	v_cmp_ne_u32_e64 s[6:7], 0, v33
	s_and_saveexec_b64 s[26:27], s[6:7]
	s_cbranch_execnz .LBB13_53
.LBB13_44:                              ;   in Loop: Header=BB13_12 Depth=1
	s_or_b64 exec, exec, s[26:27]
	v_add_u32_e32 v36, s11, v34
	s_and_saveexec_b64 s[26:27], vcc
	s_cbranch_execnz .LBB13_54
.LBB13_45:                              ;   in Loop: Header=BB13_12 Depth=1
	s_or_b64 exec, exec, s[26:27]
	s_and_b64 exec, exec, s[6:7]
	s_cbranch_execz .LBB13_47
.LBB13_46:                              ;   in Loop: Header=BB13_12 Depth=1
	v_cvt_f16_f32_e32 v35, v43
	v_add_u32_e32 v36, 1, v36
	v_lshl_add_u64 v[44:45], v[36:37], 1, s[16:17]
	global_store_short v[44:45], v35, off
.LBB13_47:                              ;   in Loop: Header=BB13_12 Depth=1
	s_or_b64 exec, exec, s[24:25]
	v_add_u32_e32 v34, s36, v34
	v_add_u32_e32 v35, 2, v34
	v_cmp_gt_u32_e32 vcc, s11, v34
	v_cmp_le_u32_e64 s[6:7], s11, v35
	s_and_b64 s[6:7], vcc, s[6:7]
	s_and_saveexec_b64 s[24:25], s[6:7]
	s_cbranch_execz .LBB13_10
; %bb.48:                               ;   in Loop: Header=BB13_12 Depth=1
	v_cmp_ne_u32_e32 vcc, s37, v34
	s_and_saveexec_b64 s[26:27], vcc
	s_cbranch_execz .LBB13_9
; %bb.49:                               ;   in Loop: Header=BB13_12 Depth=1
	v_subrev_u32_e32 v34, s37, v34
	v_cmp_lt_u32_e32 vcc, 1, v34
	s_mov_b64 s[28:29], 0
	s_mov_b64 s[30:31], 0
	v_cndmask_b32_e32 v34, 1, v34, vcc
.LBB13_50:                              ;   Parent Loop BB13_12 Depth=1
                                        ; =>  This Inner Loop Header: Depth=2
	s_cmp_lg_u32 s30, 1
	s_cselect_b64 vcc, -1, 0
	s_cmp_lg_u32 s30, 0
	v_cndmask_b32_e32 v33, 0, v33, vcc
	s_cselect_b64 vcc, -1, 0
	s_add_u32 s30, s30, 1
	s_addc_u32 s31, s31, 0
	v_cmp_eq_u32_e64 s[6:7], s30, v34
	s_or_b64 s[28:29], s[6:7], s[28:29]
	v_cndmask_b32_e32 v32, 0, v32, vcc
	s_andn2_b64 exec, exec, s[28:29]
	s_cbranch_execnz .LBB13_50
; %bb.51:                               ;   in Loop: Header=BB13_12 Depth=1
	s_or_b64 exec, exec, s[28:29]
	s_branch .LBB13_9
.LBB13_52:                              ;   in Loop: Header=BB13_12 Depth=1
	v_cvt_f16_f32_e32 v36, v35
	v_mov_b32_e32 v35, v37
	v_lshl_add_u64 v[46:47], v[34:35], 1, s[16:17]
	global_store_short v[46:47], v36, off
	s_or_b64 exec, exec, s[6:7]
	v_cmp_ne_u32_e64 s[6:7], 0, v33
	s_and_saveexec_b64 s[26:27], s[6:7]
	s_cbranch_execz .LBB13_44
.LBB13_53:                              ;   in Loop: Header=BB13_12 Depth=1
	v_cvt_f16_f32_e32 v36, v45
	v_mov_b32_e32 v35, v37
	v_lshl_add_u64 v[46:47], v[34:35], 1, s[20:21]
	global_store_short v[46:47], v36, off
	s_or_b64 exec, exec, s[26:27]
	v_add_u32_e32 v36, s11, v34
	s_and_saveexec_b64 s[26:27], vcc
	s_cbranch_execz .LBB13_45
.LBB13_54:                              ;   in Loop: Header=BB13_12 Depth=1
	v_cvt_f16_f32_e32 v35, v44
	v_lshl_add_u64 v[44:45], v[36:37], 1, s[16:17]
	global_store_short v[44:45], v35, off
	s_or_b64 exec, exec, s[26:27]
	s_and_b64 exec, exec, s[6:7]
	s_cbranch_execnz .LBB13_46
	s_branch .LBB13_47
.LBB13_55:
	s_endpgm
	.section	.rodata,"a",@progbits
	.p2align	6, 0x0
	.amdhsa_kernel _Z16wvSplitK_hf_big_I6__halfLi64ELi2ELi16ELi8ELi2ELi2EEviiPKT_S3_PS1_ii
		.amdhsa_group_segment_fixed_size 65536
		.amdhsa_private_segment_fixed_size 0
		.amdhsa_kernarg_size 40
		.amdhsa_user_sgpr_count 2
		.amdhsa_user_sgpr_dispatch_ptr 0
		.amdhsa_user_sgpr_queue_ptr 0
		.amdhsa_user_sgpr_kernarg_segment_ptr 1
		.amdhsa_user_sgpr_dispatch_id 0
		.amdhsa_user_sgpr_kernarg_preload_length 0
		.amdhsa_user_sgpr_kernarg_preload_offset 0
		.amdhsa_user_sgpr_private_segment_size 0
		.amdhsa_uses_dynamic_stack 0
		.amdhsa_enable_private_segment 0
		.amdhsa_system_sgpr_workgroup_id_x 1
		.amdhsa_system_sgpr_workgroup_id_y 0
		.amdhsa_system_sgpr_workgroup_id_z 0
		.amdhsa_system_sgpr_workgroup_info 0
		.amdhsa_system_vgpr_workitem_id 1
		.amdhsa_next_free_vgpr 58
		.amdhsa_next_free_sgpr 42
		.amdhsa_accum_offset 60
		.amdhsa_reserve_vcc 1
		.amdhsa_float_round_mode_32 0
		.amdhsa_float_round_mode_16_64 0
		.amdhsa_float_denorm_mode_32 3
		.amdhsa_float_denorm_mode_16_64 3
		.amdhsa_dx10_clamp 1
		.amdhsa_ieee_mode 1
		.amdhsa_fp16_overflow 0
		.amdhsa_tg_split 0
		.amdhsa_exception_fp_ieee_invalid_op 0
		.amdhsa_exception_fp_denorm_src 0
		.amdhsa_exception_fp_ieee_div_zero 0
		.amdhsa_exception_fp_ieee_overflow 0
		.amdhsa_exception_fp_ieee_underflow 0
		.amdhsa_exception_fp_ieee_inexact 0
		.amdhsa_exception_int_div_zero 0
	.end_amdhsa_kernel
	.section	.text._Z16wvSplitK_hf_big_I6__halfLi64ELi2ELi16ELi8ELi2ELi2EEviiPKT_S3_PS1_ii,"axG",@progbits,_Z16wvSplitK_hf_big_I6__halfLi64ELi2ELi16ELi8ELi2ELi2EEviiPKT_S3_PS1_ii,comdat
.Lfunc_end13:
	.size	_Z16wvSplitK_hf_big_I6__halfLi64ELi2ELi16ELi8ELi2ELi2EEviiPKT_S3_PS1_ii, .Lfunc_end13-_Z16wvSplitK_hf_big_I6__halfLi64ELi2ELi16ELi8ELi2ELi2EEviiPKT_S3_PS1_ii
                                        ; -- End function
	.section	.AMDGPU.csdata,"",@progbits
; Kernel info:
; codeLenInByte = 2232
; NumSgprs: 48
; NumVgprs: 58
; NumAgprs: 0
; TotalNumVgprs: 58
; ScratchSize: 0
; MemoryBound: 0
; FloatMode: 240
; IeeeMode: 1
; LDSByteSize: 65536 bytes/workgroup (compile time only)
; SGPRBlocks: 5
; VGPRBlocks: 7
; NumSGPRsForWavesPerEU: 48
; NumVGPRsForWavesPerEU: 58
; AccumOffset: 60
; Occupancy: 4
; WaveLimiterHint : 0
; COMPUTE_PGM_RSRC2:SCRATCH_EN: 0
; COMPUTE_PGM_RSRC2:USER_SGPR: 2
; COMPUTE_PGM_RSRC2:TRAP_HANDLER: 0
; COMPUTE_PGM_RSRC2:TGID_X_EN: 1
; COMPUTE_PGM_RSRC2:TGID_Y_EN: 0
; COMPUTE_PGM_RSRC2:TGID_Z_EN: 0
; COMPUTE_PGM_RSRC2:TIDIG_COMP_CNT: 1
; COMPUTE_PGM_RSRC3_GFX90A:ACCUM_OFFSET: 14
; COMPUTE_PGM_RSRC3_GFX90A:TG_SPLIT: 0
	.section	.text._Z16wvSplitK_hf_sml_I6__halfLi64ELi4ELi16ELi8ELi1ELi3EEviiPKT_S3_PS1_ii,"axG",@progbits,_Z16wvSplitK_hf_sml_I6__halfLi64ELi4ELi16ELi8ELi1ELi3EEviiPKT_S3_PS1_ii,comdat
	.protected	_Z16wvSplitK_hf_sml_I6__halfLi64ELi4ELi16ELi8ELi1ELi3EEviiPKT_S3_PS1_ii ; -- Begin function _Z16wvSplitK_hf_sml_I6__halfLi64ELi4ELi16ELi8ELi1ELi3EEviiPKT_S3_PS1_ii
	.globl	_Z16wvSplitK_hf_sml_I6__halfLi64ELi4ELi16ELi8ELi1ELi3EEviiPKT_S3_PS1_ii
	.p2align	8
	.type	_Z16wvSplitK_hf_sml_I6__halfLi64ELi4ELi16ELi8ELi1ELi3EEviiPKT_S3_PS1_ii,@function
_Z16wvSplitK_hf_sml_I6__halfLi64ELi4ELi16ELi8ELi1ELi3EEviiPKT_S3_PS1_ii: ; @_Z16wvSplitK_hf_sml_I6__halfLi64ELi4ELi16ELi8ELi1ELi3EEviiPKT_S3_PS1_ii
; %bb.0:
	s_load_dwordx2 s[4:5], s[0:1], 0x0
	v_and_b32_e32 v2, 0x3ff, v0
	v_bfe_u32 v3, v0, 10, 10
	v_lshlrev_b32_e32 v32, 3, v2
	s_mov_b32 s3, 0
	s_waitcnt lgkmcnt(0)
	s_cmp_lg_u32 s4, 0
	s_cselect_b64 s[16:17], -1, 0
	s_cmp_eq_u32 s4, 0
	s_cbranch_scc1 .LBB14_6
; %bb.1:
	s_load_dwordx2 s[6:7], s[0:1], 0x10
	s_mul_i32 s8, s4, 3
	v_lshlrev_b32_e32 v0, 4, v2
	s_min_i32 s14, s8, 0x8000
	v_lshl_add_u32 v4, v3, 10, v0
	v_lshl_add_u32 v5, v3, 9, v32
	s_mov_b64 s[8:9], 0
	v_mov_b32_e32 v1, 0
                                        ; implicit-def: $sgpr10_sgpr11
	s_branch .LBB14_3
.LBB14_2:                               ;   in Loop: Header=BB14_3 Depth=1
	s_or_b64 exec, exec, s[12:13]
	s_and_b64 s[12:13], exec, s[10:11]
	s_or_b64 s[8:9], s[12:13], s[8:9]
	s_andn2_b64 exec, exec, s[8:9]
	s_cbranch_execz .LBB14_5
.LBB14_3:                               ; =>This Inner Loop Header: Depth=1
	v_add_u32_e32 v0, s3, v5
	v_cmp_gt_u32_e32 vcc, s14, v0
	s_or_b64 s[10:11], s[10:11], exec
	s_and_saveexec_b64 s[12:13], vcc
	s_cbranch_execz .LBB14_2
; %bb.4:                                ;   in Loop: Header=BB14_3 Depth=1
	s_waitcnt lgkmcnt(0)
	v_lshl_add_u64 v[6:7], v[0:1], 1, s[6:7]
	global_load_dwordx4 v[6:9], v[6:7], off
	s_addk_i32 s3, 0x2000
	s_cmp_ge_u32 s3, s14
	s_cselect_b64 s[18:19], -1, 0
	s_andn2_b64 s[10:11], s[10:11], exec
	s_and_b64 s[18:19], s[18:19], exec
	s_or_b64 s[10:11], s[10:11], s[18:19]
	s_waitcnt vmcnt(0)
	ds_write_b128 v4, v[6:9]
	v_add_u32_e32 v4, 0x4000, v4
	s_branch .LBB14_2
.LBB14_5:
	s_or_b64 exec, exec, s[8:9]
.LBB14_6:
	s_load_dwordx2 s[10:11], s[0:1], 0x20
	s_waitcnt lgkmcnt(0)
	s_barrier
	v_cmp_gt_u32_e32 vcc, s10, v3
	s_and_saveexec_b64 s[6:7], vcc
	s_cbranch_execz .LBB14_17
; %bb.7:
	s_mul_i32 s2, s2, s10
	v_add_u32_e32 v0, s2, v3
	v_lshlrev_b32_e32 v24, 2, v0
	v_cmp_gt_u32_e32 vcc, s5, v24
	s_and_b64 exec, exec, vcc
	s_cbranch_execz .LBB14_17
; %bb.8:
	s_load_dwordx2 s[6:7], s[0:1], 0x8
	s_load_dwordx2 s[8:9], s[0:1], 0x18
	s_mul_i32 s2, s10, s11
	v_mul_lo_u32 v0, s4, v0
	s_lshl_b32 s18, s2, 2
	s_ashr_i32 s11, s4, 31
	s_mov_b32 s10, s4
	v_lshl_add_u32 v34, v0, 2, v32
	s_mul_i32 s2, s2, s4
	v_cndmask_b32_e64 v0, 0, 1, s[16:17]
	v_cmp_eq_u32_e64 s[0:1], 63, v2
	s_lshl_b64 s[12:13], s[10:11], 1
	s_lshl_b32 s19, s4, 2
	v_lshlrev_b32_e32 v33, 4, v2
	s_lshl_b32 s20, s4, 1
	s_lshl_b32 s21, s2, 2
	s_mov_b64 s[14:15], 0
	v_cmp_ne_u32_e64 s[2:3], 1, v0
	v_mov_b32_e32 v27, 0
	s_branch .LBB14_10
.LBB14_9:                               ;   in Loop: Header=BB14_10 Depth=1
	s_or_b64 exec, exec, s[16:17]
	v_add_u32_e32 v24, s18, v24
	v_cmp_le_u32_e32 vcc, s5, v24
	s_or_b64 s[14:15], vcc, s[14:15]
	v_add_u32_e32 v34, s21, v34
	s_andn2_b64 exec, exec, s[14:15]
	s_cbranch_execz .LBB14_17
.LBB14_10:                              ; =>This Loop Header: Depth=1
                                        ;     Child Loop BB14_13 Depth 2
	s_mov_b32 s22, 0
	s_and_b64 vcc, exec, s[2:3]
	v_mov_b32_e32 v35, v27
	v_mov_b32_e32 v36, v27
	;; [unrolled: 1-line block ×12, first 2 shown]
	s_cbranch_vccnz .LBB14_15
; %bb.11:                               ;   in Loop: Header=BB14_10 Depth=1
	v_mov_b32_e32 v45, 0
	v_mov_b32_e32 v46, v33
	;; [unrolled: 1-line block ×13, first 2 shown]
	s_branch .LBB14_13
.LBB14_12:                              ;   in Loop: Header=BB14_13 Depth=2
	s_or_b64 exec, exec, s[16:17]
	s_addk_i32 s22, 0x200
	s_cmp_ge_u32 s22, s4
	v_add_u32_e32 v46, 0x400, v46
	s_cbranch_scc1 .LBB14_15
.LBB14_13:                              ;   Parent Loop BB14_10 Depth=1
                                        ; =>  This Inner Loop Header: Depth=2
	v_add_u32_e32 v0, s22, v32
	v_cmp_gt_u32_e32 vcc, s4, v0
	s_and_saveexec_b64 s[16:17], vcc
	s_cbranch_execz .LBB14_12
; %bb.14:                               ;   in Loop: Header=BB14_13 Depth=2
	v_add_u32_e32 v26, s22, v34
	s_waitcnt lgkmcnt(0)
	v_lshl_add_u64 v[0:1], v[26:27], 1, s[6:7]
	global_load_dwordx4 v[20:23], v[0:1], off nt
	v_lshl_add_u64 v[0:1], s[10:11], 1, v[0:1]
	global_load_dwordx4 v[12:15], v[0:1], off nt
	;; [unrolled: 2-line block ×3, first 2 shown]
	v_lshl_add_u64 v[0:1], v[0:1], 0, s[12:13]
	v_add_u32_e32 v16, s20, v46
	global_load_dwordx4 v[0:3], v[0:1], off nt
	ds_read_b128 v[4:7], v46
	v_add_u32_e32 v26, s19, v46
	ds_read_b128 v[16:19], v16
	ds_read2_b32 v[30:31], v26 offset1:1
	ds_read2_b32 v[28:29], v26 offset0:2 offset1:3
	s_waitcnt vmcnt(3) lgkmcnt(3)
	;;#ASMSTART
	v_dot2c_f32_f16 v45, v4, v20
	;;#ASMEND
	s_waitcnt lgkmcnt(2)
	;;#ASMSTART
	v_dot2c_f32_f16 v42, v16, v20
	;;#ASMEND
	s_waitcnt lgkmcnt(1)
	;;#ASMSTART
	v_dot2c_f32_f16 v38, v30, v20
	;;#ASMEND
	s_waitcnt vmcnt(2)
	;;#ASMSTART
	v_dot2c_f32_f16 v25, v4, v12
	;;#ASMEND
	;;#ASMSTART
	v_dot2c_f32_f16 v41, v16, v12
	;;#ASMEND
	;;#ASMSTART
	v_dot2c_f32_f16 v37, v30, v12
	;;#ASMEND
	s_waitcnt vmcnt(1)
	;;#ASMSTART
	v_dot2c_f32_f16 v44, v4, v8
	;;#ASMEND
	;;#ASMSTART
	v_dot2c_f32_f16 v40, v16, v8
	;;#ASMEND
	;; [unrolled: 10-line block ×3, first 2 shown]
	;;#ASMSTART
	v_dot2c_f32_f16 v35, v30, v0
	;;#ASMEND
	;;#ASMSTART
	v_dot2c_f32_f16 v45, v5, v21
	;;#ASMEND
	;; [unrolled: 3-line block ×10, first 2 shown]
	s_nop 0
	;;#ASMSTART
	v_dot2c_f32_f16 v43, v5, v1
	;;#ASMEND
	;;#ASMSTART
	v_dot2c_f32_f16 v39, v17, v1
	;;#ASMEND
	;; [unrolled: 3-line block ×5, first 2 shown]
	s_waitcnt lgkmcnt(0)
	;;#ASMSTART
	v_dot2c_f32_f16 v38, v28, v22
	;;#ASMEND
	;;#ASMSTART
	v_dot2c_f32_f16 v25, v6, v14
	;;#ASMEND
	;; [unrolled: 3-line block ×12, first 2 shown]
	s_nop 0
	;;#ASMSTART
	v_dot2c_f32_f16 v38, v29, v23
	;;#ASMEND
	;;#ASMSTART
	v_dot2c_f32_f16 v25, v7, v15
	;;#ASMEND
	;; [unrolled: 3-line block ×10, first 2 shown]
	s_branch .LBB14_12
.LBB14_15:                              ;   in Loop: Header=BB14_10 Depth=1
	;;#ASMSTART
	s_nop 0
	v_add_f32 v45, v45, v45 row_shr:8 bound_ctrl:0 
	;;#ASMEND
	;;#ASMSTART
	s_nop 0
	v_add_f32 v25, v25, v25 row_shr:8 bound_ctrl:0 
	;;#ASMEND
	;;#ASMSTART
	s_nop 0
	v_add_f32 v44, v44, v44 row_shr:8 bound_ctrl:0 
	;;#ASMEND
	;;#ASMSTART
	s_nop 0
	v_add_f32 v43, v43, v43 row_shr:8 bound_ctrl:0 
	;;#ASMEND
	;;#ASMSTART
	s_nop 0
	v_add_f32 v42, v42, v42 row_shr:8 bound_ctrl:0 
	;;#ASMEND
	;;#ASMSTART
	s_nop 0
	v_add_f32 v41, v41, v41 row_shr:8 bound_ctrl:0 
	;;#ASMEND
	;;#ASMSTART
	s_nop 0
	v_add_f32 v40, v40, v40 row_shr:8 bound_ctrl:0 
	;;#ASMEND
	;;#ASMSTART
	s_nop 0
	v_add_f32 v39, v39, v39 row_shr:8 bound_ctrl:0 
	;;#ASMEND
	;;#ASMSTART
	s_nop 0
	v_add_f32 v38, v38, v38 row_shr:8 bound_ctrl:0 
	;;#ASMEND
	;;#ASMSTART
	s_nop 0
	v_add_f32 v37, v37, v37 row_shr:8 bound_ctrl:0 
	;;#ASMEND
	;;#ASMSTART
	s_nop 0
	v_add_f32 v36, v36, v36 row_shr:8 bound_ctrl:0 
	;;#ASMEND
	;;#ASMSTART
	s_nop 0
	v_add_f32 v35, v35, v35 row_shr:8 bound_ctrl:0 
	;;#ASMEND
	s_nop 0
	;;#ASMSTART
	s_nop 0
	v_add_f32 v45, v45, v45 row_shr:4 bound_ctrl:0 
	;;#ASMEND
	;;#ASMSTART
	s_nop 0
	v_add_f32 v25, v25, v25 row_shr:4 bound_ctrl:0 
	;;#ASMEND
	;;#ASMSTART
	s_nop 0
	v_add_f32 v44, v44, v44 row_shr:4 bound_ctrl:0 
	;;#ASMEND
	;;#ASMSTART
	s_nop 0
	v_add_f32 v43, v43, v43 row_shr:4 bound_ctrl:0 
	;;#ASMEND
	;;#ASMSTART
	s_nop 0
	v_add_f32 v42, v42, v42 row_shr:4 bound_ctrl:0 
	;;#ASMEND
	;;#ASMSTART
	s_nop 0
	v_add_f32 v41, v41, v41 row_shr:4 bound_ctrl:0 
	;;#ASMEND
	;;#ASMSTART
	s_nop 0
	v_add_f32 v40, v40, v40 row_shr:4 bound_ctrl:0 
	;;#ASMEND
	;;#ASMSTART
	s_nop 0
	v_add_f32 v39, v39, v39 row_shr:4 bound_ctrl:0 
	;;#ASMEND
	;;#ASMSTART
	s_nop 0
	v_add_f32 v38, v38, v38 row_shr:4 bound_ctrl:0 
	;;#ASMEND
	;;#ASMSTART
	s_nop 0
	v_add_f32 v37, v37, v37 row_shr:4 bound_ctrl:0 
	;;#ASMEND
	;;#ASMSTART
	s_nop 0
	v_add_f32 v36, v36, v36 row_shr:4 bound_ctrl:0 
	;;#ASMEND
	;;#ASMSTART
	s_nop 0
	v_add_f32 v35, v35, v35 row_shr:4 bound_ctrl:0 
	;;#ASMEND
	s_nop 0
	;; [unrolled: 49-line block ×3, first 2 shown]
	;;#ASMSTART
	s_nop 0
	v_add_f32 v45, v45, v45 wave_shr:1 bound_ctrl:0
	;;#ASMEND
	;;#ASMSTART
	s_nop 0
	v_add_f32 v25, v25, v25 wave_shr:1 bound_ctrl:0
	;;#ASMEND
	;; [unrolled: 4-line block ×12, first 2 shown]
	s_nop 0
	;;#ASMSTART
	s_nop 0
	v_add_f32 v45, v45, v45 row_bcast:15 bound_ctrl:0
	;;#ASMEND
	;;#ASMSTART
	s_nop 0
	v_add_f32 v25, v25, v25 row_bcast:15 bound_ctrl:0
	;;#ASMEND
	;; [unrolled: 4-line block ×12, first 2 shown]
	s_nop 0
	;;#ASMSTART
	s_nop 0
	v_add_f32 v45, v45, v45 row_bcast:31 bound_ctrl:0
	;;#ASMEND
	;;#ASMSTART
	s_nop 0
	v_add_f32 v25, v25, v25 row_bcast:31 bound_ctrl:0
	;;#ASMEND
	;; [unrolled: 4-line block ×12, first 2 shown]
	s_and_saveexec_b64 s[16:17], s[0:1]
	s_cbranch_execz .LBB14_9
; %bb.16:                               ;   in Loop: Header=BB14_10 Depth=1
	v_cvt_f16_f32_e32 v3, v44
	v_cvt_f16_f32_e32 v4, v43
	;; [unrolled: 1-line block ×4, first 2 shown]
	v_mov_b32_e32 v25, v27
	v_pack_b32_f16 v3, v3, v4
	v_cvt_f16_f32_e32 v4, v42
	s_waitcnt lgkmcnt(0)
	v_lshl_add_u64 v[0:1], v[24:25], 1, s[8:9]
	v_pack_b32_f16 v2, v2, v5
	global_store_dwordx2 v[0:1], v[2:3], off
	v_add_u32_e32 v26, s5, v24
	v_cvt_f16_f32_e32 v2, v41
	v_lshl_add_u64 v[0:1], v[26:27], 1, s[8:9]
	global_store_short v[0:1], v4, off
	v_add_u32_e32 v0, 1, v26
	v_mov_b32_e32 v1, v27
	v_lshl_add_u64 v[0:1], v[0:1], 1, s[8:9]
	global_store_short v[0:1], v2, off
	v_cvt_f16_f32_e32 v2, v40
	v_add_u32_e32 v0, 2, v26
	v_mov_b32_e32 v1, v27
	v_lshl_add_u64 v[0:1], v[0:1], 1, s[8:9]
	global_store_short v[0:1], v2, off
	v_cvt_f16_f32_e32 v2, v39
	v_cvt_f16_f32_e32 v3, v38
	;; [unrolled: 1-line block ×3, first 2 shown]
	v_add_u32_e32 v0, 3, v26
	v_mov_b32_e32 v1, v27
	v_lshl_add_u64 v[0:1], v[0:1], 1, s[8:9]
	v_add_u32_e32 v26, s5, v26
	global_store_short v[0:1], v2, off
	v_lshl_add_u64 v[0:1], v[26:27], 1, s[8:9]
	v_pack_b32_f16 v2, v3, v4
	global_store_dword v[0:1], v2, off
	v_cvt_f16_f32_e32 v2, v36
	v_cvt_f16_f32_e32 v3, v35
	v_add_u32_e32 v0, 2, v26
	v_mov_b32_e32 v1, v27
	v_lshl_add_u64 v[0:1], v[0:1], 1, s[8:9]
	v_add_u32_e32 v26, 3, v26
	global_store_short v[0:1], v2, off
	v_lshl_add_u64 v[0:1], v[26:27], 1, s[8:9]
	global_store_short v[0:1], v3, off
	s_branch .LBB14_9
.LBB14_17:
	s_endpgm
	.section	.rodata,"a",@progbits
	.p2align	6, 0x0
	.amdhsa_kernel _Z16wvSplitK_hf_sml_I6__halfLi64ELi4ELi16ELi8ELi1ELi3EEviiPKT_S3_PS1_ii
		.amdhsa_group_segment_fixed_size 65536
		.amdhsa_private_segment_fixed_size 0
		.amdhsa_kernarg_size 40
		.amdhsa_user_sgpr_count 2
		.amdhsa_user_sgpr_dispatch_ptr 0
		.amdhsa_user_sgpr_queue_ptr 0
		.amdhsa_user_sgpr_kernarg_segment_ptr 1
		.amdhsa_user_sgpr_dispatch_id 0
		.amdhsa_user_sgpr_kernarg_preload_length 0
		.amdhsa_user_sgpr_kernarg_preload_offset 0
		.amdhsa_user_sgpr_private_segment_size 0
		.amdhsa_uses_dynamic_stack 0
		.amdhsa_enable_private_segment 0
		.amdhsa_system_sgpr_workgroup_id_x 1
		.amdhsa_system_sgpr_workgroup_id_y 0
		.amdhsa_system_sgpr_workgroup_id_z 0
		.amdhsa_system_sgpr_workgroup_info 0
		.amdhsa_system_vgpr_workitem_id 1
		.amdhsa_next_free_vgpr 47
		.amdhsa_next_free_sgpr 23
		.amdhsa_accum_offset 48
		.amdhsa_reserve_vcc 1
		.amdhsa_float_round_mode_32 0
		.amdhsa_float_round_mode_16_64 0
		.amdhsa_float_denorm_mode_32 3
		.amdhsa_float_denorm_mode_16_64 3
		.amdhsa_dx10_clamp 1
		.amdhsa_ieee_mode 1
		.amdhsa_fp16_overflow 0
		.amdhsa_tg_split 0
		.amdhsa_exception_fp_ieee_invalid_op 0
		.amdhsa_exception_fp_denorm_src 0
		.amdhsa_exception_fp_ieee_div_zero 0
		.amdhsa_exception_fp_ieee_overflow 0
		.amdhsa_exception_fp_ieee_underflow 0
		.amdhsa_exception_fp_ieee_inexact 0
		.amdhsa_exception_int_div_zero 0
	.end_amdhsa_kernel
	.section	.text._Z16wvSplitK_hf_sml_I6__halfLi64ELi4ELi16ELi8ELi1ELi3EEviiPKT_S3_PS1_ii,"axG",@progbits,_Z16wvSplitK_hf_sml_I6__halfLi64ELi4ELi16ELi8ELi1ELi3EEviiPKT_S3_PS1_ii,comdat
.Lfunc_end14:
	.size	_Z16wvSplitK_hf_sml_I6__halfLi64ELi4ELi16ELi8ELi1ELi3EEviiPKT_S3_PS1_ii, .Lfunc_end14-_Z16wvSplitK_hf_sml_I6__halfLi64ELi4ELi16ELi8ELi1ELi3EEviiPKT_S3_PS1_ii
                                        ; -- End function
	.section	.AMDGPU.csdata,"",@progbits
; Kernel info:
; codeLenInByte = 2536
; NumSgprs: 29
; NumVgprs: 47
; NumAgprs: 0
; TotalNumVgprs: 47
; ScratchSize: 0
; MemoryBound: 0
; FloatMode: 240
; IeeeMode: 1
; LDSByteSize: 65536 bytes/workgroup (compile time only)
; SGPRBlocks: 3
; VGPRBlocks: 5
; NumSGPRsForWavesPerEU: 29
; NumVGPRsForWavesPerEU: 47
; AccumOffset: 48
; Occupancy: 4
; WaveLimiterHint : 0
; COMPUTE_PGM_RSRC2:SCRATCH_EN: 0
; COMPUTE_PGM_RSRC2:USER_SGPR: 2
; COMPUTE_PGM_RSRC2:TRAP_HANDLER: 0
; COMPUTE_PGM_RSRC2:TGID_X_EN: 1
; COMPUTE_PGM_RSRC2:TGID_Y_EN: 0
; COMPUTE_PGM_RSRC2:TGID_Z_EN: 0
; COMPUTE_PGM_RSRC2:TIDIG_COMP_CNT: 1
; COMPUTE_PGM_RSRC3_GFX90A:ACCUM_OFFSET: 11
; COMPUTE_PGM_RSRC3_GFX90A:TG_SPLIT: 0
	.section	.text._Z12wvSplitK_hf_I6__halfLi64ELi7ELi16ELi8ELi1ELi3EEviiPKT_S3_PS1_ii,"axG",@progbits,_Z12wvSplitK_hf_I6__halfLi64ELi7ELi16ELi8ELi1ELi3EEviiPKT_S3_PS1_ii,comdat
	.protected	_Z12wvSplitK_hf_I6__halfLi64ELi7ELi16ELi8ELi1ELi3EEviiPKT_S3_PS1_ii ; -- Begin function _Z12wvSplitK_hf_I6__halfLi64ELi7ELi16ELi8ELi1ELi3EEviiPKT_S3_PS1_ii
	.globl	_Z12wvSplitK_hf_I6__halfLi64ELi7ELi16ELi8ELi1ELi3EEviiPKT_S3_PS1_ii
	.p2align	8
	.type	_Z12wvSplitK_hf_I6__halfLi64ELi7ELi16ELi8ELi1ELi3EEviiPKT_S3_PS1_ii,@function
_Z12wvSplitK_hf_I6__halfLi64ELi7ELi16ELi8ELi1ELi3EEviiPKT_S3_PS1_ii: ; @_Z12wvSplitK_hf_I6__halfLi64ELi7ELi16ELi8ELi1ELi3EEviiPKT_S3_PS1_ii
; %bb.0:
	s_load_dwordx2 s[12:13], s[0:1], 0x20
	s_load_dwordx2 s[16:17], s[0:1], 0x0
	;; [unrolled: 1-line block ×3, first 2 shown]
	v_bfe_u32 v11, v0, 10, 10
	s_mov_b32 s4, 1
	s_waitcnt lgkmcnt(0)
	s_mul_i32 s2, s2, s12
	v_add_u32_e32 v1, s2, v11
	v_mul_lo_u32 v50, v1, 7
	v_add_u32_e32 v1, 7, v50
	v_cmp_gt_u32_e32 vcc, s17, v50
	v_cmp_le_u32_e64 s[2:3], s17, v1
	s_mov_b32 s5, s4
	s_mov_b32 s6, s4
	;; [unrolled: 1-line block ×6, first 2 shown]
	v_mov_b32_e32 v2, s4
	s_and_b64 s[14:15], vcc, s[2:3]
	v_mov_b32_e32 v3, s5
	v_mov_b32_e32 v4, s6
	;; [unrolled: 1-line block ×6, first 2 shown]
	s_and_saveexec_b64 s[2:3], s[14:15]
	s_cbranch_execz .LBB15_6
; %bb.1:
	s_add_i32 s11, s17, -7
	v_mov_b32_e32 v2, s4
	v_cmp_ne_u32_e32 vcc, s11, v50
	v_mov_b32_e32 v3, s5
	v_mov_b32_e32 v4, s6
	;; [unrolled: 1-line block ×6, first 2 shown]
	s_and_saveexec_b64 s[14:15], vcc
	s_cbranch_execz .LBB15_5
; %bb.2:
	v_subrev_u32_e32 v1, s11, v50
	v_cmp_lt_u32_e32 vcc, 1, v1
	s_mov_b64 s[20:21], 0
	s_mov_b64 s[22:23], 0
	v_cndmask_b32_e32 v10, 1, v1, vcc
	s_mov_b32 s5, s4
	s_mov_b32 s6, s4
	s_mov_b32 s7, s4
	s_mov_b32 s8, s4
	s_mov_b32 s9, s4
	s_mov_b32 s10, s4
.LBB15_3:                               ; =>This Inner Loop Header: Depth=1
	s_cmp_lg_u32 s22, 6
	s_cselect_b32 s10, s10, 0
	s_cmp_lg_u32 s22, 5
	s_cselect_b32 s9, s9, 0
	;; [unrolled: 2-line block ×7, first 2 shown]
	s_add_u32 s22, s22, 1
	s_addc_u32 s23, s23, 0
	v_cmp_eq_u32_e32 vcc, s22, v10
	v_mov_b32_e32 v2, s4
	s_or_b64 s[20:21], vcc, s[20:21]
	v_mov_b32_e32 v3, s5
	v_mov_b32_e32 v4, s6
	;; [unrolled: 1-line block ×6, first 2 shown]
	s_andn2_b64 exec, exec, s[20:21]
	s_cbranch_execnz .LBB15_3
; %bb.4:
	s_or_b64 exec, exec, s[20:21]
	v_mov_b32_e32 v50, s11
.LBB15_5:
	s_or_b64 exec, exec, s[14:15]
.LBB15_6:
	s_or_b64 exec, exec, s[2:3]
	v_and_b32_e32 v10, 0x3ff, v0
	s_cmp_lg_u32 s16, 0
	v_lshlrev_b32_e32 v9, 3, v10
	s_cselect_b64 s[4:5], -1, 0
	s_cmp_eq_u32 s16, 0
	s_mov_b32 s10, 0
	s_cbranch_scc1 .LBB15_12
; %bb.7:
	s_mul_i32 s2, s16, 3
	v_lshlrev_b32_e32 v0, 4, v10
	s_min_i32 s11, s2, 0x8000
	v_lshl_add_u32 v12, v11, 10, v0
	v_lshl_add_u32 v13, v11, 9, v9
	s_mov_b64 s[2:3], 0
	v_mov_b32_e32 v1, 0
                                        ; implicit-def: $sgpr6_sgpr7
	s_branch .LBB15_9
.LBB15_8:                               ;   in Loop: Header=BB15_9 Depth=1
	s_or_b64 exec, exec, s[8:9]
	s_and_b64 s[8:9], exec, s[6:7]
	s_or_b64 s[2:3], s[8:9], s[2:3]
	s_andn2_b64 exec, exec, s[2:3]
	s_cbranch_execz .LBB15_11
.LBB15_9:                               ; =>This Inner Loop Header: Depth=1
	v_add_u32_e32 v0, s10, v13
	v_cmp_gt_u32_e32 vcc, s11, v0
	s_or_b64 s[6:7], s[6:7], exec
	s_and_saveexec_b64 s[8:9], vcc
	s_cbranch_execz .LBB15_8
; %bb.10:                               ;   in Loop: Header=BB15_9 Depth=1
	v_lshl_add_u64 v[14:15], v[0:1], 1, s[18:19]
	global_load_dwordx4 v[14:17], v[14:15], off
	s_addk_i32 s10, 0x2000
	s_cmp_ge_u32 s10, s11
	s_cselect_b64 s[14:15], -1, 0
	s_andn2_b64 s[6:7], s[6:7], exec
	s_and_b64 s[14:15], s[14:15], exec
	s_or_b64 s[6:7], s[6:7], s[14:15]
	s_waitcnt vmcnt(0)
	ds_write_b128 v12, v[14:17]
	v_add_u32_e32 v12, 0x4000, v12
	s_branch .LBB15_8
.LBB15_11:
	s_or_b64 exec, exec, s[2:3]
.LBB15_12:
	v_cmp_gt_u32_e32 vcc, s12, v11
	v_cmp_gt_u32_e64 s[2:3], s17, v50
	s_and_b64 s[2:3], vcc, s[2:3]
	s_waitcnt lgkmcnt(0)
	s_barrier
	s_and_saveexec_b64 s[6:7], s[2:3]
	s_cbranch_execz .LBB15_88
; %bb.13:
	s_load_dwordx2 s[20:21], s[0:1], 0x8
	s_load_dwordx2 s[22:23], s[0:1], 0x18
	s_mul_i32 s33, s12, s13
	s_ashr_i32 s25, s16, 31
	s_mov_b32 s24, s16
	v_cndmask_b32_e64 v0, 0, 1, s[4:5]
	v_cmp_eq_u32_e64 s[0:1], 63, v10
	s_mul_i32 s33, s33, 7
	s_add_i32 s36, s17, -7
	s_lshl_b64 s[26:27], s[24:25], 1
	s_mov_b64 s[28:29], 0
	v_cmp_ne_u32_e64 s[2:3], 1, v0
	v_mov_b32_e32 v1, 0
	s_movk_i32 s37, 0x7fff
                                        ; implicit-def: $vgpr34_vgpr35_vgpr36_vgpr37
                                        ; implicit-def: $vgpr30_vgpr31_vgpr32_vgpr33
                                        ; implicit-def: $vgpr26_vgpr27_vgpr28_vgpr29
                                        ; implicit-def: $vgpr22_vgpr23_vgpr24_vgpr25
                                        ; implicit-def: $vgpr18_vgpr19_vgpr20_vgpr21
                                        ; implicit-def: $vgpr14_vgpr15_vgpr16_vgpr17
                                        ; implicit-def: $vgpr10_vgpr11_vgpr12_vgpr13
                                        ; implicit-def: $vgpr40_vgpr41
                                        ; implicit-def: $vgpr44_vgpr45
                                        ; implicit-def: $vgpr48_vgpr49
	s_branch .LBB15_16
.LBB15_14:                              ;   in Loop: Header=BB15_16 Depth=1
	s_or_b64 exec, exec, s[8:9]
	v_mov_b32_e32 v50, s36
.LBB15_15:                              ;   in Loop: Header=BB15_16 Depth=1
	s_or_b64 exec, exec, s[6:7]
	v_cmp_le_u32_e32 vcc, s17, v50
	s_or_b64 s[28:29], vcc, s[28:29]
	s_andn2_b64 exec, exec, s[28:29]
	s_cbranch_execz .LBB15_88
.LBB15_16:                              ; =>This Loop Header: Depth=1
                                        ;     Child Loop BB15_19 Depth 2
                                        ;     Child Loop BB15_66 Depth 2
	s_and_b64 vcc, exec, s[2:3]
	s_mov_b32 s8, 0
	s_cbranch_vccnz .LBB15_39
; %bb.17:                               ;   in Loop: Header=BB15_16 Depth=1
	v_mul_lo_u32 v74, v50, s16
	v_mov_b32_e32 v54, 0
	v_mov_b32_e32 v55, 0
	;; [unrolled: 1-line block ×21, first 2 shown]
	s_branch .LBB15_19
.LBB15_18:                              ;   in Loop: Header=BB15_19 Depth=2
	s_or_b64 exec, exec, s[4:5]
	s_addk_i32 s8, 0x200
	s_cmp_ge_u32 s8, s16
	s_cbranch_scc1 .LBB15_40
.LBB15_19:                              ;   Parent Loop BB15_16 Depth=1
                                        ; =>  This Inner Loop Header: Depth=2
	v_add_u32_e32 v52, s8, v9
	v_cmp_gt_u32_e32 vcc, s16, v52
	s_and_saveexec_b64 s[6:7], vcc
	s_cbranch_execnz .LBB15_23
; %bb.20:                               ;   in Loop: Header=BB15_19 Depth=2
	s_or_b64 exec, exec, s[6:7]
	s_and_saveexec_b64 s[4:5], vcc
	s_cbranch_execnz .LBB15_36
.LBB15_21:                              ;   in Loop: Header=BB15_19 Depth=2
	s_or_b64 exec, exec, s[4:5]
	s_and_saveexec_b64 s[4:5], vcc
	s_cbranch_execnz .LBB15_37
.LBB15_22:                              ;   in Loop: Header=BB15_19 Depth=2
	s_or_b64 exec, exec, s[4:5]
	s_and_saveexec_b64 s[4:5], vcc
	s_cbranch_execz .LBB15_18
	s_branch .LBB15_38
.LBB15_23:                              ;   in Loop: Header=BB15_19 Depth=2
	v_add_u32_e32 v0, v52, v74
	s_waitcnt vmcnt(4) lgkmcnt(0)
	v_lshl_add_u64 v[18:19], v[0:1], 1, s[20:21]
	v_lshl_add_u64 v[20:21], s[24:25], 1, v[18:19]
	s_waitcnt vmcnt(2)
	v_lshl_add_u64 v[26:27], v[20:21], 0, s[26:27]
	v_lshl_add_u64 v[28:29], v[26:27], 0, s[26:27]
	s_waitcnt vmcnt(0)
	v_lshl_add_u64 v[34:35], v[28:29], 0, s[26:27]
	v_lshl_add_u64 v[36:37], v[34:35], 0, s[26:27]
	global_load_dwordx4 v[10:13], v[18:19], off nt
	global_load_dwordx4 v[14:17], v[20:21], off nt
	s_nop 0
	global_load_dwordx4 v[18:21], v[26:27], off nt
	global_load_dwordx4 v[22:25], v[28:29], off nt
	s_nop 0
	global_load_dwordx4 v[26:29], v[34:35], off nt
	global_load_dwordx4 v[30:33], v[36:37], off nt
	v_lshl_add_u64 v[34:35], v[36:37], 0, s[26:27]
	global_load_dwordx4 v[34:37], v[34:35], off nt
	v_cmp_lt_u32_e64 s[4:5], s37, v52
                                        ; implicit-def: $vgpr38_vgpr39
	s_and_saveexec_b64 s[10:11], s[4:5]
	s_xor_b64 s[4:5], exec, s[10:11]
	s_cbranch_execz .LBB15_25
; %bb.24:                               ;   in Loop: Header=BB15_19 Depth=2
	v_mov_b32_e32 v53, v1
	v_lshl_add_u64 v[38:39], v[52:53], 1, s[18:19]
	global_load_dwordx4 v[38:41], v[38:39], off
.LBB15_25:                              ;   in Loop: Header=BB15_19 Depth=2
	s_andn2_saveexec_b64 s[4:5], s[4:5]
	s_cbranch_execz .LBB15_27
; %bb.26:                               ;   in Loop: Header=BB15_19 Depth=2
	v_lshlrev_b32_e32 v0, 1, v52
	s_waitcnt vmcnt(0)
	ds_read_b128 v[38:41], v0
.LBB15_27:                              ;   in Loop: Header=BB15_19 Depth=2
	s_or_b64 exec, exec, s[4:5]
	v_add_u32_e32 v0, s16, v52
	v_cmp_lt_u32_e64 s[4:5], s37, v0
                                        ; implicit-def: $vgpr42_vgpr43
	s_and_saveexec_b64 s[10:11], s[4:5]
	s_xor_b64 s[4:5], exec, s[10:11]
	s_cbranch_execz .LBB15_29
; %bb.28:                               ;   in Loop: Header=BB15_19 Depth=2
	v_lshl_add_u64 v[42:43], v[0:1], 1, s[18:19]
	global_load_dwordx4 v[42:45], v[42:43], off
.LBB15_29:                              ;   in Loop: Header=BB15_19 Depth=2
	s_andn2_saveexec_b64 s[4:5], s[4:5]
	s_cbranch_execz .LBB15_31
; %bb.30:                               ;   in Loop: Header=BB15_19 Depth=2
	s_waitcnt vmcnt(0)
	v_lshlrev_b32_e32 v42, 1, v0
	ds_read_b128 v[42:45], v42
.LBB15_31:                              ;   in Loop: Header=BB15_19 Depth=2
	s_or_b64 exec, exec, s[4:5]
	v_add_u32_e32 v0, s16, v0
	v_cmp_lt_u32_e64 s[4:5], s37, v0
                                        ; implicit-def: $vgpr46_vgpr47
	s_and_saveexec_b64 s[10:11], s[4:5]
	s_xor_b64 s[4:5], exec, s[10:11]
	s_cbranch_execz .LBB15_33
; %bb.32:                               ;   in Loop: Header=BB15_19 Depth=2
	v_lshl_add_u64 v[46:47], v[0:1], 1, s[18:19]
	global_load_dwordx4 v[46:49], v[46:47], off
.LBB15_33:                              ;   in Loop: Header=BB15_19 Depth=2
	s_andn2_saveexec_b64 s[4:5], s[4:5]
	s_cbranch_execz .LBB15_35
; %bb.34:                               ;   in Loop: Header=BB15_19 Depth=2
	v_lshlrev_b32_e32 v0, 1, v0
	s_waitcnt vmcnt(0)
	ds_read2_b32 v[46:47], v0 offset1:1
	ds_read2_b32 v[48:49], v0 offset0:2 offset1:3
.LBB15_35:                              ;   in Loop: Header=BB15_19 Depth=2
	s_or_b64 exec, exec, s[4:5]
	s_or_b64 exec, exec, s[6:7]
	s_and_saveexec_b64 s[4:5], vcc
	s_cbranch_execz .LBB15_21
.LBB15_36:                              ;   in Loop: Header=BB15_19 Depth=2
	s_waitcnt vmcnt(0) lgkmcnt(0)
	;;#ASMSTART
	v_dot2c_f32_f16 v51, v38, v10
	;;#ASMEND
	;;#ASMSTART
	v_dot2c_f32_f16 v73, v38, v14
	;;#ASMEND
	;;#ASMSTART
	v_dot2c_f32_f16 v72, v38, v18
	;;#ASMEND
	;;#ASMSTART
	v_dot2c_f32_f16 v71, v38, v22
	;;#ASMEND
	;;#ASMSTART
	v_dot2c_f32_f16 v70, v38, v26
	;;#ASMEND
	;;#ASMSTART
	v_dot2c_f32_f16 v69, v38, v30
	;;#ASMEND
	;;#ASMSTART
	v_dot2c_f32_f16 v68, v38, v34
	;;#ASMEND
	s_nop 0
	;;#ASMSTART
	v_dot2c_f32_f16 v51, v39, v11
	;;#ASMEND
	;;#ASMSTART
	v_dot2c_f32_f16 v73, v39, v15
	;;#ASMEND
	;;#ASMSTART
	v_dot2c_f32_f16 v72, v39, v19
	;;#ASMEND
	;;#ASMSTART
	v_dot2c_f32_f16 v71, v39, v23
	;;#ASMEND
	;;#ASMSTART
	v_dot2c_f32_f16 v70, v39, v27
	;;#ASMEND
	;;#ASMSTART
	v_dot2c_f32_f16 v69, v39, v31
	;;#ASMEND
	;;#ASMSTART
	v_dot2c_f32_f16 v68, v39, v35
	;;#ASMEND
	s_nop 0
	;; [unrolled: 22-line block ×3, first 2 shown]
	;;#ASMSTART
	v_dot2c_f32_f16 v51, v41, v13
	;;#ASMEND
	;;#ASMSTART
	v_dot2c_f32_f16 v73, v41, v17
	;;#ASMEND
	;; [unrolled: 3-line block ×7, first 2 shown]
	s_or_b64 exec, exec, s[4:5]
	s_and_saveexec_b64 s[4:5], vcc
	s_cbranch_execz .LBB15_22
.LBB15_37:                              ;   in Loop: Header=BB15_19 Depth=2
	s_waitcnt vmcnt(0) lgkmcnt(0)
	;;#ASMSTART
	v_dot2c_f32_f16 v67, v42, v10
	;;#ASMEND
	;;#ASMSTART
	v_dot2c_f32_f16 v66, v42, v14
	;;#ASMEND
	;;#ASMSTART
	v_dot2c_f32_f16 v65, v42, v18
	;;#ASMEND
	;;#ASMSTART
	v_dot2c_f32_f16 v64, v42, v22
	;;#ASMEND
	;;#ASMSTART
	v_dot2c_f32_f16 v63, v42, v26
	;;#ASMEND
	;;#ASMSTART
	v_dot2c_f32_f16 v62, v42, v30
	;;#ASMEND
	;;#ASMSTART
	v_dot2c_f32_f16 v61, v42, v34
	;;#ASMEND
	s_nop 0
	;;#ASMSTART
	v_dot2c_f32_f16 v67, v43, v11
	;;#ASMEND
	;;#ASMSTART
	v_dot2c_f32_f16 v66, v43, v15
	;;#ASMEND
	;;#ASMSTART
	v_dot2c_f32_f16 v65, v43, v19
	;;#ASMEND
	;;#ASMSTART
	v_dot2c_f32_f16 v64, v43, v23
	;;#ASMEND
	;;#ASMSTART
	v_dot2c_f32_f16 v63, v43, v27
	;;#ASMEND
	;;#ASMSTART
	v_dot2c_f32_f16 v62, v43, v31
	;;#ASMEND
	;;#ASMSTART
	v_dot2c_f32_f16 v61, v43, v35
	;;#ASMEND
	s_nop 0
	;; [unrolled: 22-line block ×3, first 2 shown]
	;;#ASMSTART
	v_dot2c_f32_f16 v67, v45, v13
	;;#ASMEND
	;;#ASMSTART
	v_dot2c_f32_f16 v66, v45, v17
	;;#ASMEND
	;; [unrolled: 3-line block ×7, first 2 shown]
	s_or_b64 exec, exec, s[4:5]
	s_and_saveexec_b64 s[4:5], vcc
	s_cbranch_execz .LBB15_18
.LBB15_38:                              ;   in Loop: Header=BB15_19 Depth=2
	s_waitcnt vmcnt(0) lgkmcnt(0)
	;;#ASMSTART
	v_dot2c_f32_f16 v60, v46, v10
	;;#ASMEND
	;;#ASMSTART
	v_dot2c_f32_f16 v59, v46, v14
	;;#ASMEND
	;;#ASMSTART
	v_dot2c_f32_f16 v58, v46, v18
	;;#ASMEND
	;;#ASMSTART
	v_dot2c_f32_f16 v57, v46, v22
	;;#ASMEND
	;;#ASMSTART
	v_dot2c_f32_f16 v56, v46, v26
	;;#ASMEND
	;;#ASMSTART
	v_dot2c_f32_f16 v55, v46, v30
	;;#ASMEND
	;;#ASMSTART
	v_dot2c_f32_f16 v54, v46, v34
	;;#ASMEND
	s_nop 0
	;;#ASMSTART
	v_dot2c_f32_f16 v60, v47, v11
	;;#ASMEND
	;;#ASMSTART
	v_dot2c_f32_f16 v59, v47, v15
	;;#ASMEND
	;;#ASMSTART
	v_dot2c_f32_f16 v58, v47, v19
	;;#ASMEND
	;;#ASMSTART
	v_dot2c_f32_f16 v57, v47, v23
	;;#ASMEND
	;;#ASMSTART
	v_dot2c_f32_f16 v56, v47, v27
	;;#ASMEND
	;;#ASMSTART
	v_dot2c_f32_f16 v55, v47, v31
	;;#ASMEND
	;;#ASMSTART
	v_dot2c_f32_f16 v54, v47, v35
	;;#ASMEND
	s_nop 0
	;; [unrolled: 22-line block ×3, first 2 shown]
	;;#ASMSTART
	v_dot2c_f32_f16 v60, v49, v13
	;;#ASMEND
	;;#ASMSTART
	v_dot2c_f32_f16 v59, v49, v17
	;;#ASMEND
	;; [unrolled: 3-line block ×7, first 2 shown]
	s_branch .LBB15_18
.LBB15_39:                              ;   in Loop: Header=BB15_16 Depth=1
	v_mov_b32_e32 v51, v1
	v_mov_b32_e32 v73, v1
	;; [unrolled: 1-line block ×21, first 2 shown]
.LBB15_40:                              ;   in Loop: Header=BB15_16 Depth=1
	;;#ASMSTART
	s_nop 0
	v_add_f32 v51, v51, v51 row_shr:8 bound_ctrl:0 
	;;#ASMEND
	;;#ASMSTART
	s_nop 0
	v_add_f32 v73, v73, v73 row_shr:8 bound_ctrl:0 
	;;#ASMEND
	;; [unrolled: 4-line block ×21, first 2 shown]
	s_nop 0
	;;#ASMSTART
	s_nop 0
	v_add_f32 v51, v51, v51 row_shr:4 bound_ctrl:0 
	;;#ASMEND
	;;#ASMSTART
	s_nop 0
	v_add_f32 v73, v73, v73 row_shr:4 bound_ctrl:0 
	;;#ASMEND
	;; [unrolled: 4-line block ×21, first 2 shown]
	s_nop 0
	;;#ASMSTART
	s_nop 0
	v_add_f32 v51, v51, v51 row_shr:2 bound_ctrl:0 
	;;#ASMEND
	;;#ASMSTART
	s_nop 0
	v_add_f32 v73, v73, v73 row_shr:2 bound_ctrl:0 
	;;#ASMEND
	;; [unrolled: 4-line block ×21, first 2 shown]
	s_nop 0
	;;#ASMSTART
	s_nop 0
	v_add_f32 v51, v51, v51 wave_shr:1 bound_ctrl:0
	;;#ASMEND
	;;#ASMSTART
	s_nop 0
	v_add_f32 v73, v73, v73 wave_shr:1 bound_ctrl:0
	;;#ASMEND
	;; [unrolled: 4-line block ×21, first 2 shown]
	s_nop 0
	;;#ASMSTART
	s_nop 0
	v_add_f32 v51, v51, v51 row_bcast:15 bound_ctrl:0
	;;#ASMEND
	;;#ASMSTART
	s_nop 0
	v_add_f32 v73, v73, v73 row_bcast:15 bound_ctrl:0
	;;#ASMEND
	;; [unrolled: 4-line block ×21, first 2 shown]
	s_nop 0
	;;#ASMSTART
	s_nop 0
	v_add_f32 v51, v51, v51 row_bcast:31 bound_ctrl:0
	;;#ASMEND
	;;#ASMSTART
	s_nop 0
	v_add_f32 v73, v73, v73 row_bcast:31 bound_ctrl:0
	;;#ASMEND
	;; [unrolled: 4-line block ×21, first 2 shown]
	s_and_saveexec_b64 s[30:31], s[0:1]
	s_cbranch_execz .LBB15_63
; %bb.41:                               ;   in Loop: Header=BB15_16 Depth=1
	v_cmp_ne_u32_e32 vcc, 0, v2
	s_and_saveexec_b64 s[4:5], vcc
	s_cbranch_execnz .LBB15_68
; %bb.42:                               ;   in Loop: Header=BB15_16 Depth=1
	s_or_b64 exec, exec, s[4:5]
	v_cmp_ne_u32_e64 s[4:5], 0, v3
	s_and_saveexec_b64 s[6:7], s[4:5]
	s_cbranch_execnz .LBB15_69
.LBB15_43:                              ;   in Loop: Header=BB15_16 Depth=1
	s_or_b64 exec, exec, s[6:7]
	v_cmp_ne_u32_e64 s[6:7], 0, v4
	s_and_saveexec_b64 s[8:9], s[6:7]
	s_cbranch_execnz .LBB15_70
.LBB15_44:                              ;   in Loop: Header=BB15_16 Depth=1
	s_or_b64 exec, exec, s[8:9]
	v_cmp_ne_u32_e64 s[8:9], 0, v5
	s_and_saveexec_b64 s[10:11], s[8:9]
	s_cbranch_execnz .LBB15_71
.LBB15_45:                              ;   in Loop: Header=BB15_16 Depth=1
	s_or_b64 exec, exec, s[10:11]
	v_cmp_ne_u32_e64 s[10:11], 0, v6
	s_and_saveexec_b64 s[12:13], s[10:11]
	s_cbranch_execnz .LBB15_72
.LBB15_46:                              ;   in Loop: Header=BB15_16 Depth=1
	s_or_b64 exec, exec, s[12:13]
	v_cmp_ne_u32_e64 s[12:13], 0, v7
	s_and_saveexec_b64 s[14:15], s[12:13]
	s_cbranch_execnz .LBB15_73
.LBB15_47:                              ;   in Loop: Header=BB15_16 Depth=1
	s_or_b64 exec, exec, s[14:15]
	v_cmp_ne_u32_e64 s[14:15], 0, v8
	s_and_saveexec_b64 s[34:35], s[14:15]
	s_cbranch_execnz .LBB15_74
.LBB15_48:                              ;   in Loop: Header=BB15_16 Depth=1
	s_or_b64 exec, exec, s[34:35]
	v_add_u32_e32 v0, s17, v50
	s_and_saveexec_b64 s[34:35], vcc
	s_cbranch_execnz .LBB15_75
.LBB15_49:                              ;   in Loop: Header=BB15_16 Depth=1
	s_or_b64 exec, exec, s[34:35]
	s_and_saveexec_b64 s[34:35], s[4:5]
	s_cbranch_execnz .LBB15_76
.LBB15_50:                              ;   in Loop: Header=BB15_16 Depth=1
	s_or_b64 exec, exec, s[34:35]
	s_and_saveexec_b64 s[34:35], s[6:7]
	s_cbranch_execnz .LBB15_77
.LBB15_51:                              ;   in Loop: Header=BB15_16 Depth=1
	s_or_b64 exec, exec, s[34:35]
	s_and_saveexec_b64 s[34:35], s[8:9]
	s_cbranch_execnz .LBB15_78
.LBB15_52:                              ;   in Loop: Header=BB15_16 Depth=1
	s_or_b64 exec, exec, s[34:35]
	s_and_saveexec_b64 s[34:35], s[10:11]
	s_cbranch_execnz .LBB15_79
.LBB15_53:                              ;   in Loop: Header=BB15_16 Depth=1
	s_or_b64 exec, exec, s[34:35]
	s_and_saveexec_b64 s[34:35], s[12:13]
	s_cbranch_execnz .LBB15_80
.LBB15_54:                              ;   in Loop: Header=BB15_16 Depth=1
	s_or_b64 exec, exec, s[34:35]
	s_and_saveexec_b64 s[34:35], s[14:15]
	s_cbranch_execnz .LBB15_81
.LBB15_55:                              ;   in Loop: Header=BB15_16 Depth=1
	s_or_b64 exec, exec, s[34:35]
	v_add_u32_e32 v0, s17, v0
	s_and_saveexec_b64 s[34:35], vcc
	s_cbranch_execnz .LBB15_82
.LBB15_56:                              ;   in Loop: Header=BB15_16 Depth=1
	s_or_b64 exec, exec, s[34:35]
	s_and_saveexec_b64 s[34:35], s[4:5]
	s_cbranch_execnz .LBB15_83
.LBB15_57:                              ;   in Loop: Header=BB15_16 Depth=1
	s_or_b64 exec, exec, s[34:35]
	s_and_saveexec_b64 s[4:5], s[6:7]
	s_cbranch_execnz .LBB15_84
.LBB15_58:                              ;   in Loop: Header=BB15_16 Depth=1
	s_or_b64 exec, exec, s[4:5]
	s_and_saveexec_b64 s[4:5], s[8:9]
	s_cbranch_execnz .LBB15_85
.LBB15_59:                              ;   in Loop: Header=BB15_16 Depth=1
	s_or_b64 exec, exec, s[4:5]
	s_and_saveexec_b64 s[4:5], s[10:11]
	s_cbranch_execnz .LBB15_86
.LBB15_60:                              ;   in Loop: Header=BB15_16 Depth=1
	s_or_b64 exec, exec, s[4:5]
	s_and_saveexec_b64 s[4:5], s[12:13]
	s_cbranch_execnz .LBB15_87
.LBB15_61:                              ;   in Loop: Header=BB15_16 Depth=1
	s_or_b64 exec, exec, s[4:5]
	s_and_b64 exec, exec, s[14:15]
	s_cbranch_execz .LBB15_63
.LBB15_62:                              ;   in Loop: Header=BB15_16 Depth=1
	v_cvt_f16_f32_e32 v51, v54
	v_add_u32_e32 v0, 6, v0
	s_waitcnt lgkmcnt(0)
	v_lshl_add_u64 v[52:53], v[0:1], 1, s[22:23]
	global_store_short v[52:53], v51, off
.LBB15_63:                              ;   in Loop: Header=BB15_16 Depth=1
	s_or_b64 exec, exec, s[30:31]
	v_add_u32_e32 v50, s33, v50
	v_add_u32_e32 v0, 7, v50
	v_cmp_gt_u32_e32 vcc, s17, v50
	v_cmp_le_u32_e64 s[4:5], s17, v0
	s_and_b64 s[4:5], vcc, s[4:5]
	s_and_saveexec_b64 s[6:7], s[4:5]
	s_cbranch_execz .LBB15_15
; %bb.64:                               ;   in Loop: Header=BB15_16 Depth=1
	v_cmp_ne_u32_e32 vcc, s36, v50
	s_and_saveexec_b64 s[8:9], vcc
	s_cbranch_execz .LBB15_14
; %bb.65:                               ;   in Loop: Header=BB15_16 Depth=1
	v_subrev_u32_e32 v0, s36, v50
	v_cmp_lt_u32_e32 vcc, 1, v0
	s_mov_b64 s[10:11], 0
	s_mov_b64 s[12:13], 0
	v_cndmask_b32_e32 v0, 1, v0, vcc
.LBB15_66:                              ;   Parent Loop BB15_16 Depth=1
                                        ; =>  This Inner Loop Header: Depth=2
	s_cmp_lg_u32 s12, 6
	s_cselect_b64 vcc, -1, 0
	s_cmp_lg_u32 s12, 5
	v_cndmask_b32_e32 v8, 0, v8, vcc
	s_cselect_b64 vcc, -1, 0
	s_cmp_lg_u32 s12, 4
	v_cndmask_b32_e32 v7, 0, v7, vcc
	;; [unrolled: 3-line block ×6, first 2 shown]
	s_cselect_b64 vcc, -1, 0
	s_add_u32 s12, s12, 1
	s_addc_u32 s13, s13, 0
	v_cmp_eq_u32_e64 s[4:5], s12, v0
	s_or_b64 s[10:11], s[4:5], s[10:11]
	v_cndmask_b32_e32 v2, 0, v2, vcc
	s_andn2_b64 exec, exec, s[10:11]
	s_cbranch_execnz .LBB15_66
; %bb.67:                               ;   in Loop: Header=BB15_16 Depth=1
	s_or_b64 exec, exec, s[10:11]
	s_branch .LBB15_14
.LBB15_68:                              ;   in Loop: Header=BB15_16 Depth=1
	v_cvt_f16_f32_e32 v0, v51
	v_mov_b32_e32 v51, v1
	s_waitcnt lgkmcnt(0)
	v_lshl_add_u64 v[52:53], v[50:51], 1, s[22:23]
	global_store_short v[52:53], v0, off
	s_or_b64 exec, exec, s[4:5]
	v_cmp_ne_u32_e64 s[4:5], 0, v3
	s_and_saveexec_b64 s[6:7], s[4:5]
	s_cbranch_execz .LBB15_43
.LBB15_69:                              ;   in Loop: Header=BB15_16 Depth=1
	v_cvt_f16_f32_e32 v51, v73
	v_add_u32_e32 v0, 1, v50
	s_waitcnt lgkmcnt(0)
	v_lshl_add_u64 v[52:53], v[0:1], 1, s[22:23]
	global_store_short v[52:53], v51, off
	s_or_b64 exec, exec, s[6:7]
	v_cmp_ne_u32_e64 s[6:7], 0, v4
	s_and_saveexec_b64 s[8:9], s[6:7]
	s_cbranch_execz .LBB15_44
.LBB15_70:                              ;   in Loop: Header=BB15_16 Depth=1
	v_cvt_f16_f32_e32 v51, v72
	v_add_u32_e32 v0, 2, v50
	s_waitcnt lgkmcnt(0)
	v_lshl_add_u64 v[52:53], v[0:1], 1, s[22:23]
	global_store_short v[52:53], v51, off
	s_or_b64 exec, exec, s[8:9]
	v_cmp_ne_u32_e64 s[8:9], 0, v5
	s_and_saveexec_b64 s[10:11], s[8:9]
	s_cbranch_execz .LBB15_45
.LBB15_71:                              ;   in Loop: Header=BB15_16 Depth=1
	v_cvt_f16_f32_e32 v51, v71
	v_add_u32_e32 v0, 3, v50
	s_waitcnt lgkmcnt(0)
	v_lshl_add_u64 v[52:53], v[0:1], 1, s[22:23]
	global_store_short v[52:53], v51, off
	s_or_b64 exec, exec, s[10:11]
	v_cmp_ne_u32_e64 s[10:11], 0, v6
	s_and_saveexec_b64 s[12:13], s[10:11]
	s_cbranch_execz .LBB15_46
.LBB15_72:                              ;   in Loop: Header=BB15_16 Depth=1
	v_cvt_f16_f32_e32 v51, v70
	v_add_u32_e32 v0, 4, v50
	s_waitcnt lgkmcnt(0)
	v_lshl_add_u64 v[52:53], v[0:1], 1, s[22:23]
	global_store_short v[52:53], v51, off
	s_or_b64 exec, exec, s[12:13]
	v_cmp_ne_u32_e64 s[12:13], 0, v7
	s_and_saveexec_b64 s[14:15], s[12:13]
	s_cbranch_execz .LBB15_47
.LBB15_73:                              ;   in Loop: Header=BB15_16 Depth=1
	v_cvt_f16_f32_e32 v51, v69
	v_add_u32_e32 v0, 5, v50
	s_waitcnt lgkmcnt(0)
	v_lshl_add_u64 v[52:53], v[0:1], 1, s[22:23]
	global_store_short v[52:53], v51, off
	s_or_b64 exec, exec, s[14:15]
	v_cmp_ne_u32_e64 s[14:15], 0, v8
	s_and_saveexec_b64 s[34:35], s[14:15]
	s_cbranch_execz .LBB15_48
.LBB15_74:                              ;   in Loop: Header=BB15_16 Depth=1
	v_cvt_f16_f32_e32 v51, v68
	v_add_u32_e32 v0, 6, v50
	s_waitcnt lgkmcnt(0)
	v_lshl_add_u64 v[52:53], v[0:1], 1, s[22:23]
	global_store_short v[52:53], v51, off
	s_or_b64 exec, exec, s[34:35]
	v_add_u32_e32 v0, s17, v50
	s_and_saveexec_b64 s[34:35], vcc
	s_cbranch_execz .LBB15_49
.LBB15_75:                              ;   in Loop: Header=BB15_16 Depth=1
	v_cvt_f16_f32_e32 v51, v67
	s_waitcnt lgkmcnt(0)
	v_lshl_add_u64 v[52:53], v[0:1], 1, s[22:23]
	global_store_short v[52:53], v51, off
	s_or_b64 exec, exec, s[34:35]
	s_and_saveexec_b64 s[34:35], s[4:5]
	s_cbranch_execz .LBB15_50
.LBB15_76:                              ;   in Loop: Header=BB15_16 Depth=1
	v_cvt_f16_f32_e32 v51, v66
	v_add_u32_e32 v52, 1, v0
	v_mov_b32_e32 v53, v1
	s_waitcnt lgkmcnt(0)
	v_lshl_add_u64 v[52:53], v[52:53], 1, s[22:23]
	global_store_short v[52:53], v51, off
	s_or_b64 exec, exec, s[34:35]
	s_and_saveexec_b64 s[34:35], s[6:7]
	s_cbranch_execz .LBB15_51
.LBB15_77:                              ;   in Loop: Header=BB15_16 Depth=1
	v_cvt_f16_f32_e32 v51, v65
	v_add_u32_e32 v52, 2, v0
	v_mov_b32_e32 v53, v1
	s_waitcnt lgkmcnt(0)
	v_lshl_add_u64 v[52:53], v[52:53], 1, s[22:23]
	global_store_short v[52:53], v51, off
	s_or_b64 exec, exec, s[34:35]
	s_and_saveexec_b64 s[34:35], s[8:9]
	s_cbranch_execz .LBB15_52
.LBB15_78:                              ;   in Loop: Header=BB15_16 Depth=1
	v_cvt_f16_f32_e32 v51, v64
	v_add_u32_e32 v52, 3, v0
	v_mov_b32_e32 v53, v1
	s_waitcnt lgkmcnt(0)
	v_lshl_add_u64 v[52:53], v[52:53], 1, s[22:23]
	global_store_short v[52:53], v51, off
	s_or_b64 exec, exec, s[34:35]
	s_and_saveexec_b64 s[34:35], s[10:11]
	s_cbranch_execz .LBB15_53
.LBB15_79:                              ;   in Loop: Header=BB15_16 Depth=1
	v_cvt_f16_f32_e32 v51, v63
	v_add_u32_e32 v52, 4, v0
	v_mov_b32_e32 v53, v1
	s_waitcnt lgkmcnt(0)
	v_lshl_add_u64 v[52:53], v[52:53], 1, s[22:23]
	global_store_short v[52:53], v51, off
	s_or_b64 exec, exec, s[34:35]
	s_and_saveexec_b64 s[34:35], s[12:13]
	s_cbranch_execz .LBB15_54
.LBB15_80:                              ;   in Loop: Header=BB15_16 Depth=1
	v_cvt_f16_f32_e32 v51, v62
	v_add_u32_e32 v52, 5, v0
	v_mov_b32_e32 v53, v1
	s_waitcnt lgkmcnt(0)
	v_lshl_add_u64 v[52:53], v[52:53], 1, s[22:23]
	global_store_short v[52:53], v51, off
	s_or_b64 exec, exec, s[34:35]
	s_and_saveexec_b64 s[34:35], s[14:15]
	s_cbranch_execz .LBB15_55
.LBB15_81:                              ;   in Loop: Header=BB15_16 Depth=1
	v_cvt_f16_f32_e32 v51, v61
	v_add_u32_e32 v52, 6, v0
	v_mov_b32_e32 v53, v1
	s_waitcnt lgkmcnt(0)
	v_lshl_add_u64 v[52:53], v[52:53], 1, s[22:23]
	global_store_short v[52:53], v51, off
	s_or_b64 exec, exec, s[34:35]
	v_add_u32_e32 v0, s17, v0
	s_and_saveexec_b64 s[34:35], vcc
	s_cbranch_execz .LBB15_56
.LBB15_82:                              ;   in Loop: Header=BB15_16 Depth=1
	v_cvt_f16_f32_e32 v51, v60
	s_waitcnt lgkmcnt(0)
	v_lshl_add_u64 v[52:53], v[0:1], 1, s[22:23]
	global_store_short v[52:53], v51, off
	s_or_b64 exec, exec, s[34:35]
	s_and_saveexec_b64 s[34:35], s[4:5]
	s_cbranch_execz .LBB15_57
.LBB15_83:                              ;   in Loop: Header=BB15_16 Depth=1
	v_cvt_f16_f32_e32 v51, v59
	v_add_u32_e32 v52, 1, v0
	v_mov_b32_e32 v53, v1
	s_waitcnt lgkmcnt(0)
	v_lshl_add_u64 v[52:53], v[52:53], 1, s[22:23]
	global_store_short v[52:53], v51, off
	s_or_b64 exec, exec, s[34:35]
	s_and_saveexec_b64 s[4:5], s[6:7]
	s_cbranch_execz .LBB15_58
.LBB15_84:                              ;   in Loop: Header=BB15_16 Depth=1
	v_cvt_f16_f32_e32 v51, v58
	v_add_u32_e32 v52, 2, v0
	v_mov_b32_e32 v53, v1
	s_waitcnt lgkmcnt(0)
	v_lshl_add_u64 v[52:53], v[52:53], 1, s[22:23]
	global_store_short v[52:53], v51, off
	s_or_b64 exec, exec, s[4:5]
	s_and_saveexec_b64 s[4:5], s[8:9]
	s_cbranch_execz .LBB15_59
.LBB15_85:                              ;   in Loop: Header=BB15_16 Depth=1
	v_cvt_f16_f32_e32 v51, v57
	v_add_u32_e32 v52, 3, v0
	v_mov_b32_e32 v53, v1
	s_waitcnt lgkmcnt(0)
	v_lshl_add_u64 v[52:53], v[52:53], 1, s[22:23]
	global_store_short v[52:53], v51, off
	s_or_b64 exec, exec, s[4:5]
	s_and_saveexec_b64 s[4:5], s[10:11]
	s_cbranch_execz .LBB15_60
.LBB15_86:                              ;   in Loop: Header=BB15_16 Depth=1
	v_cvt_f16_f32_e32 v51, v56
	v_add_u32_e32 v52, 4, v0
	v_mov_b32_e32 v53, v1
	s_waitcnt lgkmcnt(0)
	v_lshl_add_u64 v[52:53], v[52:53], 1, s[22:23]
	global_store_short v[52:53], v51, off
	s_or_b64 exec, exec, s[4:5]
	s_and_saveexec_b64 s[4:5], s[12:13]
	s_cbranch_execz .LBB15_61
.LBB15_87:                              ;   in Loop: Header=BB15_16 Depth=1
	v_cvt_f16_f32_e32 v51, v55
	v_add_u32_e32 v52, 5, v0
	v_mov_b32_e32 v53, v1
	s_waitcnt lgkmcnt(0)
	v_lshl_add_u64 v[52:53], v[52:53], 1, s[22:23]
	global_store_short v[52:53], v51, off
	s_or_b64 exec, exec, s[4:5]
	s_and_b64 exec, exec, s[14:15]
	s_cbranch_execnz .LBB15_62
	s_branch .LBB15_63
.LBB15_88:
	s_endpgm
	.section	.rodata,"a",@progbits
	.p2align	6, 0x0
	.amdhsa_kernel _Z12wvSplitK_hf_I6__halfLi64ELi7ELi16ELi8ELi1ELi3EEviiPKT_S3_PS1_ii
		.amdhsa_group_segment_fixed_size 65536
		.amdhsa_private_segment_fixed_size 0
		.amdhsa_kernarg_size 40
		.amdhsa_user_sgpr_count 2
		.amdhsa_user_sgpr_dispatch_ptr 0
		.amdhsa_user_sgpr_queue_ptr 0
		.amdhsa_user_sgpr_kernarg_segment_ptr 1
		.amdhsa_user_sgpr_dispatch_id 0
		.amdhsa_user_sgpr_kernarg_preload_length 0
		.amdhsa_user_sgpr_kernarg_preload_offset 0
		.amdhsa_user_sgpr_private_segment_size 0
		.amdhsa_uses_dynamic_stack 0
		.amdhsa_enable_private_segment 0
		.amdhsa_system_sgpr_workgroup_id_x 1
		.amdhsa_system_sgpr_workgroup_id_y 0
		.amdhsa_system_sgpr_workgroup_id_z 0
		.amdhsa_system_sgpr_workgroup_info 0
		.amdhsa_system_vgpr_workitem_id 1
		.amdhsa_next_free_vgpr 75
		.amdhsa_next_free_sgpr 38
		.amdhsa_accum_offset 76
		.amdhsa_reserve_vcc 1
		.amdhsa_float_round_mode_32 0
		.amdhsa_float_round_mode_16_64 0
		.amdhsa_float_denorm_mode_32 3
		.amdhsa_float_denorm_mode_16_64 3
		.amdhsa_dx10_clamp 1
		.amdhsa_ieee_mode 1
		.amdhsa_fp16_overflow 0
		.amdhsa_tg_split 0
		.amdhsa_exception_fp_ieee_invalid_op 0
		.amdhsa_exception_fp_denorm_src 0
		.amdhsa_exception_fp_ieee_div_zero 0
		.amdhsa_exception_fp_ieee_overflow 0
		.amdhsa_exception_fp_ieee_underflow 0
		.amdhsa_exception_fp_ieee_inexact 0
		.amdhsa_exception_int_div_zero 0
	.end_amdhsa_kernel
	.section	.text._Z12wvSplitK_hf_I6__halfLi64ELi7ELi16ELi8ELi1ELi3EEviiPKT_S3_PS1_ii,"axG",@progbits,_Z12wvSplitK_hf_I6__halfLi64ELi7ELi16ELi8ELi1ELi3EEviiPKT_S3_PS1_ii,comdat
.Lfunc_end15:
	.size	_Z12wvSplitK_hf_I6__halfLi64ELi7ELi16ELi8ELi1ELi3EEviiPKT_S3_PS1_ii, .Lfunc_end15-_Z12wvSplitK_hf_I6__halfLi64ELi7ELi16ELi8ELi1ELi3EEviiPKT_S3_PS1_ii
                                        ; -- End function
	.section	.AMDGPU.csdata,"",@progbits
; Kernel info:
; codeLenInByte = 5512
; NumSgprs: 44
; NumVgprs: 75
; NumAgprs: 0
; TotalNumVgprs: 75
; ScratchSize: 0
; MemoryBound: 1
; FloatMode: 240
; IeeeMode: 1
; LDSByteSize: 65536 bytes/workgroup (compile time only)
; SGPRBlocks: 5
; VGPRBlocks: 9
; NumSGPRsForWavesPerEU: 44
; NumVGPRsForWavesPerEU: 75
; AccumOffset: 76
; Occupancy: 4
; WaveLimiterHint : 0
; COMPUTE_PGM_RSRC2:SCRATCH_EN: 0
; COMPUTE_PGM_RSRC2:USER_SGPR: 2
; COMPUTE_PGM_RSRC2:TRAP_HANDLER: 0
; COMPUTE_PGM_RSRC2:TGID_X_EN: 1
; COMPUTE_PGM_RSRC2:TGID_Y_EN: 0
; COMPUTE_PGM_RSRC2:TGID_Z_EN: 0
; COMPUTE_PGM_RSRC2:TIDIG_COMP_CNT: 1
; COMPUTE_PGM_RSRC3_GFX90A:ACCUM_OFFSET: 18
; COMPUTE_PGM_RSRC3_GFX90A:TG_SPLIT: 0
	.section	.text._Z16wvSplitK_hf_big_I6__halfLi64ELi7ELi16ELi8ELi1ELi3EEviiPKT_S3_PS1_ii,"axG",@progbits,_Z16wvSplitK_hf_big_I6__halfLi64ELi7ELi16ELi8ELi1ELi3EEviiPKT_S3_PS1_ii,comdat
	.protected	_Z16wvSplitK_hf_big_I6__halfLi64ELi7ELi16ELi8ELi1ELi3EEviiPKT_S3_PS1_ii ; -- Begin function _Z16wvSplitK_hf_big_I6__halfLi64ELi7ELi16ELi8ELi1ELi3EEviiPKT_S3_PS1_ii
	.globl	_Z16wvSplitK_hf_big_I6__halfLi64ELi7ELi16ELi8ELi1ELi3EEviiPKT_S3_PS1_ii
	.p2align	8
	.type	_Z16wvSplitK_hf_big_I6__halfLi64ELi7ELi16ELi8ELi1ELi3EEviiPKT_S3_PS1_ii,@function
_Z16wvSplitK_hf_big_I6__halfLi64ELi7ELi16ELi8ELi1ELi3EEviiPKT_S3_PS1_ii: ; @_Z16wvSplitK_hf_big_I6__halfLi64ELi7ELi16ELi8ELi1ELi3EEviiPKT_S3_PS1_ii
; %bb.0:
	s_load_dwordx2 s[12:13], s[0:1], 0x20
	v_bfe_u32 v1, v0, 10, 10
	s_waitcnt lgkmcnt(0)
	v_cmp_gt_u32_e32 vcc, s12, v1
	s_and_saveexec_b64 s[4:5], vcc
	s_cbranch_execz .LBB16_78
; %bb.1:
	s_load_dwordx2 s[18:19], s[0:1], 0x0
	s_mul_i32 s2, s2, s12
	v_add_u32_e32 v2, s2, v1
	v_mul_lo_u32 v50, v2, 7
	v_add_u32_e32 v2, 7, v50
	s_mov_b32 s4, 1
	s_waitcnt lgkmcnt(0)
	v_cmp_gt_u32_e32 vcc, s19, v50
	v_cmp_le_u32_e64 s[2:3], s19, v2
	s_mov_b32 s5, s4
	s_mov_b32 s6, s4
	;; [unrolled: 1-line block ×6, first 2 shown]
	v_mov_b32_e32 v2, s4
	s_and_b64 s[14:15], vcc, s[2:3]
	v_mov_b32_e32 v3, s5
	v_mov_b32_e32 v4, s6
	;; [unrolled: 1-line block ×6, first 2 shown]
	s_and_saveexec_b64 s[2:3], s[14:15]
	s_cbranch_execz .LBB16_7
; %bb.2:
	s_add_i32 s11, s19, -7
	v_mov_b32_e32 v2, s4
	v_cmp_ne_u32_e32 vcc, s11, v50
	v_mov_b32_e32 v3, s5
	v_mov_b32_e32 v4, s6
	;; [unrolled: 1-line block ×6, first 2 shown]
	s_and_saveexec_b64 s[14:15], vcc
	s_cbranch_execz .LBB16_6
; %bb.3:
	v_subrev_u32_e32 v2, s11, v50
	v_cmp_lt_u32_e32 vcc, 1, v2
	s_mov_b64 s[16:17], 0
	s_mov_b64 s[20:21], 0
	v_cndmask_b32_e32 v10, 1, v2, vcc
	s_mov_b32 s5, s4
	s_mov_b32 s6, s4
	;; [unrolled: 1-line block ×6, first 2 shown]
.LBB16_4:                               ; =>This Inner Loop Header: Depth=1
	s_cmp_lg_u32 s20, 6
	s_cselect_b32 s10, s10, 0
	s_cmp_lg_u32 s20, 5
	s_cselect_b32 s9, s9, 0
	;; [unrolled: 2-line block ×7, first 2 shown]
	s_add_u32 s20, s20, 1
	s_addc_u32 s21, s21, 0
	v_cmp_eq_u32_e32 vcc, s20, v10
	v_mov_b32_e32 v2, s4
	s_or_b64 s[16:17], vcc, s[16:17]
	v_mov_b32_e32 v3, s5
	v_mov_b32_e32 v4, s6
	;; [unrolled: 1-line block ×6, first 2 shown]
	s_andn2_b64 exec, exec, s[16:17]
	s_cbranch_execnz .LBB16_4
; %bb.5:
	s_or_b64 exec, exec, s[16:17]
	v_mov_b32_e32 v50, s11
.LBB16_6:
	s_or_b64 exec, exec, s[14:15]
.LBB16_7:
	s_or_b64 exec, exec, s[2:3]
	s_mul_i32 s44, s12, 7
	s_abs_i32 s2, s44
	v_cvt_f32_u32_e32 v9, s2
	s_sub_i32 s5, 0, s2
	s_abs_i32 s4, s19
	s_ashr_i32 s3, s19, 31
	v_rcp_iflag_f32_e32 v9, v9
	s_nop 0
	v_mul_f32_e32 v9, 0x4f7ffffe, v9
	v_cvt_u32_f32_e32 v9, v9
	s_nop 0
	v_readfirstlane_b32 s6, v9
	s_mul_i32 s5, s5, s6
	s_mul_hi_u32 s5, s6, s5
	s_add_i32 s6, s6, s5
	s_mul_hi_u32 s5, s4, s6
	s_mul_i32 s5, s5, s2
	s_sub_i32 s4, s4, s5
	s_sub_i32 s5, s4, s2
	s_cmp_ge_u32 s4, s2
	s_cselect_b32 s4, s5, s4
	s_sub_i32 s5, s4, s2
	s_cmp_ge_u32 s4, s2
	s_cselect_b32 s2, s5, s4
	s_xor_b32 s2, s2, s3
	s_sub_i32 s2, s2, s3
	s_add_i32 s3, s44, s19
	s_sub_i32 s3, s3, s2
	s_cmp_eq_u32 s2, 0
	s_cselect_b32 s33, s19, s3
	v_cmp_gt_u32_e32 vcc, s33, v50
	s_and_b64 exec, exec, vcc
	s_cbranch_execz .LBB16_78
; %bb.8:
	s_mov_b32 s2, 0
	s_load_dwordx4 s[20:23], s[0:1], 0x8
	s_load_dwordx2 s[24:25], s[0:1], 0x18
	v_cvt_f64_i32_e32 v[10:11], s18
	s_mov_b32 s3, 0x40c50000
	v_min_f64 v[10:11], v[10:11], s[2:3]
	s_cmp_lg_u32 s18, 0
	v_and_b32_e32 v0, 0x3ff, v0
	v_cvt_u32_f64_e32 v10, v[10:11]
	v_lshlrev_b32_e32 v9, 3, v0
	s_cselect_b64 s[2:3], -1, 0
	v_cmp_eq_u32_e64 s[0:1], 63, v0
	s_ashr_i32 s27, s18, 31
	s_mov_b32 s26, s18
	v_lshlrev_b32_e32 v0, 4, v0
	s_lshl_b32 s43, s12, 9
	s_add_i32 s45, s19, -7
	s_lshl_b64 s[28:29], s[26:27], 1
	v_lshl_add_u32 v53, v1, 10, v0
	v_cndmask_b32_e64 v0, 0, 1, s[2:3]
	v_cmp_ne_u32_e32 vcc, 0, v10
	v_readfirstlane_b32 s42, v10
	s_waitcnt lgkmcnt(0)
	s_add_u32 s30, s24, 2
	v_lshl_add_u32 v55, v1, 9, v9
	v_cmp_ne_u32_e64 s[2:3], 1, v0
	v_cndmask_b32_e64 v0, 0, 1, vcc
	s_mul_i32 s44, s44, s13
	s_addc_u32 s31, s25, 0
	v_lshlrev_b32_e32 v52, 2, v10
	s_lshl_b32 s46, s12, 10
	v_lshlrev_b32_e32 v54, 1, v10
	v_lshl_add_u32 v56, s18, 1, v55
	v_add_u32_e32 v57, s18, v55
	s_mov_b64 s[34:35], 0
	v_cmp_ne_u32_e64 s[4:5], 1, v0
	v_mov_b32_e32 v1, 0
	s_lshl_b32 s47, s42, 1
	s_branch .LBB16_12
.LBB16_9:                               ;   in Loop: Header=BB16_12 Depth=1
	s_or_b64 exec, exec, s[10:11]
	v_mov_b32_e32 v50, s45
.LBB16_10:                              ;   in Loop: Header=BB16_12 Depth=1
	s_or_b64 exec, exec, s[8:9]
.LBB16_11:                              ;   in Loop: Header=BB16_12 Depth=1
	s_or_b64 exec, exec, s[36:37]
	v_cmp_le_u32_e32 vcc, s33, v50
	s_or_b64 s[34:35], vcc, s[34:35]
	s_andn2_b64 exec, exec, s[34:35]
	s_cbranch_execz .LBB16_78
.LBB16_12:                              ; =>This Loop Header: Depth=1
                                        ;     Child Loop BB16_16 Depth 2
                                        ;       Child Loop BB16_21 Depth 3
                                        ;     Child Loop BB16_56 Depth 2
	s_mov_b32 s14, 0
	s_and_b64 vcc, exec, s[2:3]
	v_mov_b32_e32 v58, v1
	v_mov_b32_e32 v59, v1
	;; [unrolled: 1-line block ×21, first 2 shown]
	s_cbranch_vccnz .LBB16_27
; %bb.13:                               ;   in Loop: Header=BB16_12 Depth=1
	v_cmp_gt_u32_e64 s[6:7], s19, v50
	v_mul_lo_u32 v78, v50, s18
	v_mov_b32_e32 v77, 0
	v_mov_b32_e32 v51, 0
	v_mov_b32_e32 v76, 0
	v_mov_b32_e32 v75, 0
	v_mov_b32_e32 v74, 0
	v_mov_b32_e32 v73, 0
	v_mov_b32_e32 v72, 0
	v_mov_b32_e32 v71, 0
	v_mov_b32_e32 v70, 0
	v_mov_b32_e32 v69, 0
	v_mov_b32_e32 v68, 0
	v_mov_b32_e32 v67, 0
	v_mov_b32_e32 v66, 0
	v_mov_b32_e32 v65, 0
	v_mov_b32_e32 v64, 0
	v_mov_b32_e32 v63, 0
	v_mov_b32_e32 v62, 0
	v_mov_b32_e32 v61, 0
	v_mov_b32_e32 v60, 0
	v_mov_b32_e32 v59, 0
	v_mov_b32_e32 v58, 0
	s_mov_b32 s15, 0
	s_branch .LBB16_16
.LBB16_14:                              ;   in Loop: Header=BB16_16 Depth=2
	s_or_b64 exec, exec, s[10:11]
.LBB16_15:                              ;   in Loop: Header=BB16_16 Depth=2
	s_or_b64 exec, exec, s[8:9]
	s_addk_i32 s15, 0x200
	s_cmp_ge_u32 s15, s18
	s_cbranch_scc1 .LBB16_27
.LBB16_16:                              ;   Parent Loop BB16_12 Depth=1
                                        ; =>  This Loop Header: Depth=2
                                        ;       Child Loop BB16_21 Depth 3
	s_cmp_eq_u32 s15, 0
	s_cselect_b64 s[8:9], -1, 0
	s_add_i32 s10, s14, s42
	s_cmp_eq_u32 s15, s10
	s_cselect_b64 s[12:13], -1, 0
	s_or_b64 s[12:13], s[8:9], s[12:13]
	s_andn2_b64 vcc, exec, s[12:13]
	s_cbranch_vccz .LBB16_18
; %bb.17:                               ;   in Loop: Header=BB16_16 Depth=2
	s_and_saveexec_b64 s[8:9], s[6:7]
	s_cbranch_execz .LBB16_15
	s_branch .LBB16_25
.LBB16_18:                              ;   in Loop: Header=BB16_16 Depth=2
	s_and_b64 s[8:9], s[8:9], exec
	s_cselect_b32 s14, s14, s10
	s_and_b64 vcc, exec, s[4:5]
	s_barrier
	s_cbranch_vccnz .LBB16_24
; %bb.19:                               ;   in Loop: Header=BB16_16 Depth=2
	v_add_u32_e32 v10, s14, v56
	v_add_u32_e32 v11, s14, v57
	;; [unrolled: 1-line block ×3, first 2 shown]
	s_mov_b32 s16, 0
	s_mov_b64 s[10:11], 0
	v_mov_b32_e32 v13, v53
                                        ; implicit-def: $sgpr12_sgpr13
	s_branch .LBB16_21
.LBB16_20:                              ;   in Loop: Header=BB16_21 Depth=3
	s_or_b64 exec, exec, s[8:9]
	s_and_b64 s[8:9], exec, s[12:13]
	s_or_b64 s[10:11], s[8:9], s[10:11]
	s_andn2_b64 exec, exec, s[10:11]
	s_cbranch_execz .LBB16_23
.LBB16_21:                              ;   Parent Loop BB16_12 Depth=1
                                        ;     Parent Loop BB16_16 Depth=2
                                        ; =>    This Inner Loop Header: Depth=3
	v_add_u32_e32 v14, s16, v55
	v_add_u32_e32 v0, s16, v12
	v_cmp_gt_u32_e32 vcc, s18, v0
	v_cmp_gt_u32_e64 s[8:9], s42, v14
	s_and_b64 s[36:37], vcc, s[8:9]
	s_or_b64 s[12:13], s[12:13], exec
	s_and_saveexec_b64 s[8:9], s[36:37]
	s_cbranch_execz .LBB16_20
; %bb.22:                               ;   in Loop: Header=BB16_21 Depth=3
	v_lshl_add_u64 v[22:23], v[0:1], 1, s[22:23]
	v_add_u32_e32 v0, s16, v11
	v_lshl_add_u64 v[24:25], v[0:1], 1, s[22:23]
	v_add_u32_e32 v0, s16, v10
	global_load_dwordx4 v[14:17], v[22:23], off
	global_load_dwordx4 v[18:21], v[24:25], off
	v_lshl_add_u64 v[22:23], v[0:1], 1, s[22:23]
	global_load_dwordx4 v[22:25], v[22:23], off
	s_add_i32 s16, s16, s43
	s_cmp_ge_u32 s16, s42
	s_cselect_b64 s[36:37], -1, 0
	s_andn2_b64 s[12:13], s[12:13], exec
	s_and_b64 s[36:37], s[36:37], exec
	v_add_u32_e32 v0, v13, v54
	v_add_u32_e32 v26, v13, v52
	s_or_b64 s[12:13], s[12:13], s[36:37]
	s_waitcnt vmcnt(2)
	ds_write_b128 v13, v[14:17]
	v_add_u32_e32 v13, s46, v13
	s_waitcnt vmcnt(1)
	ds_write2_b64 v0, v[18:19], v[20:21] offset1:1
	s_waitcnt vmcnt(0)
	ds_write2_b32 v26, v22, v23 offset1:1
	ds_write2_b32 v26, v24, v25 offset0:2 offset1:3
	s_branch .LBB16_20
.LBB16_23:                              ;   in Loop: Header=BB16_16 Depth=2
	s_or_b64 exec, exec, s[10:11]
.LBB16_24:                              ;   in Loop: Header=BB16_16 Depth=2
	s_waitcnt lgkmcnt(0)
	s_barrier
	s_and_saveexec_b64 s[8:9], s[6:7]
	s_cbranch_execz .LBB16_15
.LBB16_25:                              ;   in Loop: Header=BB16_16 Depth=2
	v_add_u32_e32 v18, s15, v9
	v_cmp_gt_u32_e32 vcc, s18, v18
	s_and_saveexec_b64 s[10:11], vcc
	s_cbranch_execz .LBB16_14
; %bb.26:                               ;   in Loop: Header=BB16_16 Depth=2
	v_add_u32_e32 v0, v18, v78
	v_lshl_add_u64 v[10:11], v[0:1], 1, s[20:21]
	global_load_dwordx4 v[46:49], v[10:11], off nt
	v_lshl_add_u64 v[10:11], s[26:27], 1, v[10:11]
	global_load_dwordx4 v[42:45], v[10:11], off nt
	;; [unrolled: 2-line block ×5, first 2 shown]
	v_lshl_add_u64 v[10:11], v[10:11], 0, s[28:29]
	v_subrev_u32_e32 v0, s14, v18
	global_load_dwordx4 v[14:17], v[10:11], off nt
	v_lshl_add_u64 v[10:11], v[10:11], 0, s[28:29]
	v_lshlrev_b32_e32 v0, 1, v0
	global_load_dwordx4 v[10:13], v[10:11], off nt
	v_add_u32_e32 v18, s47, v0
	ds_read_b128 v[30:33], v0
	ds_read_b128 v[34:37], v18
	v_add_u32_e32 v0, s47, v18
	ds_read_b128 v[18:21], v0
	s_waitcnt vmcnt(6) lgkmcnt(2)
	;;#ASMSTART
	v_dot2c_f32_f16 v51, v30, v46
	;;#ASMEND
	s_waitcnt lgkmcnt(1)
	;;#ASMSTART
	v_dot2c_f32_f16 v71, v34, v46
	;;#ASMEND
	s_waitcnt lgkmcnt(0)
	;;#ASMSTART
	v_dot2c_f32_f16 v64, v18, v46
	;;#ASMEND
	s_waitcnt vmcnt(5)
	;;#ASMSTART
	v_dot2c_f32_f16 v77, v30, v42
	;;#ASMEND
	;;#ASMSTART
	v_dot2c_f32_f16 v70, v34, v42
	;;#ASMEND
	;;#ASMSTART
	v_dot2c_f32_f16 v63, v18, v42
	;;#ASMEND
	s_waitcnt vmcnt(4)
	;;#ASMSTART
	v_dot2c_f32_f16 v76, v30, v38
	;;#ASMEND
	;;#ASMSTART
	v_dot2c_f32_f16 v69, v34, v38
	;;#ASMEND
	;; [unrolled: 10-line block ×4, first 2 shown]
	s_waitcnt vmcnt(1)
	;;#ASMSTART
	v_dot2c_f32_f16 v73, v30, v14
	;;#ASMEND
	;;#ASMSTART
	v_dot2c_f32_f16 v66, v34, v14
	;;#ASMEND
	s_waitcnt vmcnt(0)
	;;#ASMSTART
	v_dot2c_f32_f16 v72, v30, v10
	;;#ASMEND
	;;#ASMSTART
	v_dot2c_f32_f16 v65, v34, v10
	;;#ASMEND
	;; [unrolled: 3-line block ×21, first 2 shown]
	s_nop 0
	;;#ASMSTART
	v_dot2c_f32_f16 v72, v31, v11
	;;#ASMEND
	;;#ASMSTART
	v_dot2c_f32_f16 v65, v35, v11
	;;#ASMEND
	;; [unrolled: 3-line block ×20, first 2 shown]
	s_nop 0
	;;#ASMSTART
	v_dot2c_f32_f16 v72, v32, v12
	;;#ASMEND
	;;#ASMSTART
	v_dot2c_f32_f16 v65, v36, v12
	;;#ASMEND
	;; [unrolled: 3-line block ×21, first 2 shown]
	s_nop 0
	;;#ASMSTART
	v_dot2c_f32_f16 v72, v33, v13
	;;#ASMEND
	;;#ASMSTART
	v_dot2c_f32_f16 v65, v37, v13
	;;#ASMEND
	;; [unrolled: 3-line block ×6, first 2 shown]
	s_branch .LBB16_14
.LBB16_27:                              ;   in Loop: Header=BB16_12 Depth=1
	v_cmp_le_u32_e32 vcc, s19, v50
	s_and_saveexec_b64 s[6:7], vcc
	s_xor_b64 s[6:7], exec, s[6:7]
; %bb.28:                               ;   in Loop: Header=BB16_12 Depth=1
	v_add_u32_e32 v50, s44, v50
                                        ; implicit-def: $vgpr58
                                        ; implicit-def: $vgpr59
                                        ; implicit-def: $vgpr60
                                        ; implicit-def: $vgpr61
                                        ; implicit-def: $vgpr62
                                        ; implicit-def: $vgpr63
                                        ; implicit-def: $vgpr64
                                        ; implicit-def: $vgpr65
                                        ; implicit-def: $vgpr66
                                        ; implicit-def: $vgpr67
                                        ; implicit-def: $vgpr68
                                        ; implicit-def: $vgpr69
                                        ; implicit-def: $vgpr70
                                        ; implicit-def: $vgpr71
                                        ; implicit-def: $vgpr72
                                        ; implicit-def: $vgpr73
                                        ; implicit-def: $vgpr74
                                        ; implicit-def: $vgpr75
                                        ; implicit-def: $vgpr76
                                        ; implicit-def: $vgpr51
                                        ; implicit-def: $vgpr77
; %bb.29:                               ;   in Loop: Header=BB16_12 Depth=1
	s_andn2_saveexec_b64 s[36:37], s[6:7]
	s_cbranch_execz .LBB16_11
; %bb.30:                               ;   in Loop: Header=BB16_12 Depth=1
	;;#ASMSTART
	s_nop 0
	v_add_f32 v51, v51, v51 row_shr:8 bound_ctrl:0 
	;;#ASMEND
	;;#ASMSTART
	s_nop 0
	v_add_f32 v77, v77, v77 row_shr:8 bound_ctrl:0 
	;;#ASMEND
	;; [unrolled: 4-line block ×21, first 2 shown]
	s_nop 0
	;;#ASMSTART
	s_nop 0
	v_add_f32 v51, v51, v51 row_shr:4 bound_ctrl:0 
	;;#ASMEND
	;;#ASMSTART
	s_nop 0
	v_add_f32 v77, v77, v77 row_shr:4 bound_ctrl:0 
	;;#ASMEND
	;; [unrolled: 4-line block ×21, first 2 shown]
	s_nop 0
	;;#ASMSTART
	s_nop 0
	v_add_f32 v51, v51, v51 row_shr:2 bound_ctrl:0 
	;;#ASMEND
	;;#ASMSTART
	s_nop 0
	v_add_f32 v77, v77, v77 row_shr:2 bound_ctrl:0 
	;;#ASMEND
	;; [unrolled: 4-line block ×21, first 2 shown]
	s_nop 0
	;;#ASMSTART
	s_nop 0
	v_add_f32 v51, v51, v51 wave_shr:1 bound_ctrl:0
	;;#ASMEND
	;;#ASMSTART
	s_nop 0
	v_add_f32 v77, v77, v77 wave_shr:1 bound_ctrl:0
	;;#ASMEND
	;; [unrolled: 4-line block ×21, first 2 shown]
	s_nop 0
	;;#ASMSTART
	s_nop 0
	v_add_f32 v51, v51, v51 row_bcast:15 bound_ctrl:0
	;;#ASMEND
	;;#ASMSTART
	s_nop 0
	v_add_f32 v77, v77, v77 row_bcast:15 bound_ctrl:0
	;;#ASMEND
	;;#ASMSTART
	s_nop 0
	v_add_f32 v76, v76, v76 row_bcast:15 bound_ctrl:0
	;;#ASMEND
	;;#ASMSTART
	s_nop 0
	v_add_f32 v75, v75, v75 row_bcast:15 bound_ctrl:0
	;;#ASMEND
	;;#ASMSTART
	s_nop 0
	v_add_f32 v74, v74, v74 row_bcast:15 bound_ctrl:0
	;;#ASMEND
	;;#ASMSTART
	s_nop 0
	v_add_f32 v73, v73, v73 row_bcast:15 bound_ctrl:0
	;;#ASMEND
	;;#ASMSTART
	s_nop 0
	v_add_f32 v72, v72, v72 row_bcast:15 bound_ctrl:0
	;;#ASMEND
	;;#ASMSTART
	s_nop 0
	v_add_f32 v71, v71, v71 row_bcast:15 bound_ctrl:0
	;;#ASMEND
	;;#ASMSTART
	s_nop 0
	v_add_f32 v70, v70, v70 row_bcast:15 bound_ctrl:0
	;;#ASMEND
	;;#ASMSTART
	s_nop 0
	v_add_f32 v69, v69, v69 row_bcast:15 bound_ctrl:0
	;;#ASMEND
	;;#ASMSTART
	s_nop 0
	v_add_f32 v68, v68, v68 row_bcast:15 bound_ctrl:0
	;;#ASMEND
	;;#ASMSTART
	s_nop 0
	v_add_f32 v67, v67, v67 row_bcast:15 bound_ctrl:0
	;;#ASMEND
	;;#ASMSTART
	s_nop 0
	v_add_f32 v66, v66, v66 row_bcast:15 bound_ctrl:0
	;;#ASMEND
	;;#ASMSTART
	s_nop 0
	v_add_f32 v65, v65, v65 row_bcast:15 bound_ctrl:0
	;;#ASMEND
	;;#ASMSTART
	s_nop 0
	v_add_f32 v64, v64, v64 row_bcast:15 bound_ctrl:0
	;;#ASMEND
	;;#ASMSTART
	s_nop 0
	v_add_f32 v63, v63, v63 row_bcast:15 bound_ctrl:0
	;;#ASMEND
	;;#ASMSTART
	s_nop 0
	v_add_f32 v62, v62, v62 row_bcast:15 bound_ctrl:0
	;;#ASMEND
	;;#ASMSTART
	s_nop 0
	v_add_f32 v61, v61, v61 row_bcast:15 bound_ctrl:0
	;;#ASMEND
	;;#ASMSTART
	s_nop 0
	v_add_f32 v60, v60, v60 row_bcast:15 bound_ctrl:0
	;;#ASMEND
	;;#ASMSTART
	s_nop 0
	v_add_f32 v59, v59, v59 row_bcast:15 bound_ctrl:0
	;;#ASMEND
	;;#ASMSTART
	s_nop 0
	v_add_f32 v58, v58, v58 row_bcast:15 bound_ctrl:0
	;;#ASMEND
	s_nop 0
	;;#ASMSTART
	s_nop 0
	v_add_f32 v51, v51, v51 row_bcast:31 bound_ctrl:0
	;;#ASMEND
	;;#ASMSTART
	s_nop 0
	v_add_f32 v77, v77, v77 row_bcast:31 bound_ctrl:0
	;;#ASMEND
	;; [unrolled: 4-line block ×21, first 2 shown]
	s_and_saveexec_b64 s[38:39], s[0:1]
	s_cbranch_execz .LBB16_53
; %bb.31:                               ;   in Loop: Header=BB16_12 Depth=1
	v_cmp_ne_u32_e32 vcc, 0, v2
	s_and_saveexec_b64 s[6:7], vcc
	s_cbranch_execnz .LBB16_58
; %bb.32:                               ;   in Loop: Header=BB16_12 Depth=1
	s_or_b64 exec, exec, s[6:7]
	v_cmp_ne_u32_e64 s[6:7], 0, v3
	s_and_saveexec_b64 s[8:9], s[6:7]
	s_cbranch_execnz .LBB16_59
.LBB16_33:                              ;   in Loop: Header=BB16_12 Depth=1
	s_or_b64 exec, exec, s[8:9]
	v_cmp_ne_u32_e64 s[8:9], 0, v4
	s_and_saveexec_b64 s[10:11], s[8:9]
	s_cbranch_execnz .LBB16_60
.LBB16_34:                              ;   in Loop: Header=BB16_12 Depth=1
	s_or_b64 exec, exec, s[10:11]
	v_cmp_ne_u32_e64 s[10:11], 0, v5
	s_and_saveexec_b64 s[12:13], s[10:11]
	s_cbranch_execnz .LBB16_61
.LBB16_35:                              ;   in Loop: Header=BB16_12 Depth=1
	s_or_b64 exec, exec, s[12:13]
	v_cmp_ne_u32_e64 s[12:13], 0, v6
	s_and_saveexec_b64 s[14:15], s[12:13]
	s_cbranch_execnz .LBB16_62
.LBB16_36:                              ;   in Loop: Header=BB16_12 Depth=1
	s_or_b64 exec, exec, s[14:15]
	v_cmp_ne_u32_e64 s[14:15], 0, v7
	s_and_saveexec_b64 s[16:17], s[14:15]
	s_cbranch_execnz .LBB16_63
.LBB16_37:                              ;   in Loop: Header=BB16_12 Depth=1
	s_or_b64 exec, exec, s[16:17]
	v_cmp_ne_u32_e64 s[16:17], 0, v8
	s_and_saveexec_b64 s[40:41], s[16:17]
	s_cbranch_execnz .LBB16_64
.LBB16_38:                              ;   in Loop: Header=BB16_12 Depth=1
	s_or_b64 exec, exec, s[40:41]
	v_add_u32_e32 v0, s19, v50
	s_and_saveexec_b64 s[40:41], vcc
	s_cbranch_execnz .LBB16_65
.LBB16_39:                              ;   in Loop: Header=BB16_12 Depth=1
	s_or_b64 exec, exec, s[40:41]
	s_and_saveexec_b64 s[40:41], s[6:7]
	s_cbranch_execnz .LBB16_66
.LBB16_40:                              ;   in Loop: Header=BB16_12 Depth=1
	s_or_b64 exec, exec, s[40:41]
	s_and_saveexec_b64 s[40:41], s[8:9]
	s_cbranch_execnz .LBB16_67
.LBB16_41:                              ;   in Loop: Header=BB16_12 Depth=1
	s_or_b64 exec, exec, s[40:41]
	s_and_saveexec_b64 s[40:41], s[10:11]
	s_cbranch_execnz .LBB16_68
.LBB16_42:                              ;   in Loop: Header=BB16_12 Depth=1
	s_or_b64 exec, exec, s[40:41]
	s_and_saveexec_b64 s[40:41], s[12:13]
	s_cbranch_execnz .LBB16_69
.LBB16_43:                              ;   in Loop: Header=BB16_12 Depth=1
	s_or_b64 exec, exec, s[40:41]
	s_and_saveexec_b64 s[40:41], s[14:15]
	s_cbranch_execnz .LBB16_70
.LBB16_44:                              ;   in Loop: Header=BB16_12 Depth=1
	s_or_b64 exec, exec, s[40:41]
	s_and_saveexec_b64 s[40:41], s[16:17]
	s_cbranch_execnz .LBB16_71
.LBB16_45:                              ;   in Loop: Header=BB16_12 Depth=1
	s_or_b64 exec, exec, s[40:41]
	v_add_u32_e32 v0, s19, v0
	s_and_saveexec_b64 s[40:41], vcc
	s_cbranch_execnz .LBB16_72
.LBB16_46:                              ;   in Loop: Header=BB16_12 Depth=1
	s_or_b64 exec, exec, s[40:41]
	s_and_saveexec_b64 s[40:41], s[6:7]
	s_cbranch_execnz .LBB16_73
.LBB16_47:                              ;   in Loop: Header=BB16_12 Depth=1
	s_or_b64 exec, exec, s[40:41]
	s_and_saveexec_b64 s[6:7], s[8:9]
	s_cbranch_execnz .LBB16_74
.LBB16_48:                              ;   in Loop: Header=BB16_12 Depth=1
	s_or_b64 exec, exec, s[6:7]
	s_and_saveexec_b64 s[6:7], s[10:11]
	s_cbranch_execnz .LBB16_75
.LBB16_49:                              ;   in Loop: Header=BB16_12 Depth=1
	s_or_b64 exec, exec, s[6:7]
	s_and_saveexec_b64 s[6:7], s[12:13]
	s_cbranch_execnz .LBB16_76
.LBB16_50:                              ;   in Loop: Header=BB16_12 Depth=1
	s_or_b64 exec, exec, s[6:7]
	s_and_saveexec_b64 s[6:7], s[14:15]
	s_cbranch_execnz .LBB16_77
.LBB16_51:                              ;   in Loop: Header=BB16_12 Depth=1
	s_or_b64 exec, exec, s[6:7]
	s_and_b64 exec, exec, s[16:17]
	s_cbranch_execz .LBB16_53
.LBB16_52:                              ;   in Loop: Header=BB16_12 Depth=1
	v_cvt_f16_f32_e32 v12, v58
	v_add_u32_e32 v0, 6, v0
	v_lshl_add_u64 v[10:11], v[0:1], 1, s[24:25]
	global_store_short v[10:11], v12, off
.LBB16_53:                              ;   in Loop: Header=BB16_12 Depth=1
	s_or_b64 exec, exec, s[38:39]
	v_add_u32_e32 v50, s44, v50
	v_add_u32_e32 v0, 7, v50
	v_cmp_gt_u32_e32 vcc, s19, v50
	v_cmp_le_u32_e64 s[6:7], s19, v0
	s_and_b64 s[6:7], vcc, s[6:7]
	s_and_saveexec_b64 s[8:9], s[6:7]
	s_cbranch_execz .LBB16_10
; %bb.54:                               ;   in Loop: Header=BB16_12 Depth=1
	v_cmp_ne_u32_e32 vcc, s45, v50
	s_and_saveexec_b64 s[10:11], vcc
	s_cbranch_execz .LBB16_9
; %bb.55:                               ;   in Loop: Header=BB16_12 Depth=1
	v_subrev_u32_e32 v0, s45, v50
	v_cmp_lt_u32_e32 vcc, 1, v0
	s_mov_b64 s[12:13], 0
	s_mov_b64 s[14:15], 0
	v_cndmask_b32_e32 v0, 1, v0, vcc
.LBB16_56:                              ;   Parent Loop BB16_12 Depth=1
                                        ; =>  This Inner Loop Header: Depth=2
	s_cmp_lg_u32 s14, 6
	s_cselect_b64 vcc, -1, 0
	s_cmp_lg_u32 s14, 5
	v_cndmask_b32_e32 v8, 0, v8, vcc
	s_cselect_b64 vcc, -1, 0
	s_cmp_lg_u32 s14, 4
	v_cndmask_b32_e32 v7, 0, v7, vcc
	;; [unrolled: 3-line block ×6, first 2 shown]
	s_cselect_b64 vcc, -1, 0
	s_add_u32 s14, s14, 1
	s_addc_u32 s15, s15, 0
	v_cmp_eq_u32_e64 s[6:7], s14, v0
	s_or_b64 s[12:13], s[6:7], s[12:13]
	v_cndmask_b32_e32 v2, 0, v2, vcc
	s_andn2_b64 exec, exec, s[12:13]
	s_cbranch_execnz .LBB16_56
; %bb.57:                               ;   in Loop: Header=BB16_12 Depth=1
	s_or_b64 exec, exec, s[12:13]
	s_branch .LBB16_9
.LBB16_58:                              ;   in Loop: Header=BB16_12 Depth=1
	v_cvt_f16_f32_e32 v0, v51
	v_mov_b32_e32 v51, v1
	v_lshl_add_u64 v[10:11], v[50:51], 1, s[24:25]
	global_store_short v[10:11], v0, off
	s_or_b64 exec, exec, s[6:7]
	v_cmp_ne_u32_e64 s[6:7], 0, v3
	s_and_saveexec_b64 s[8:9], s[6:7]
	s_cbranch_execz .LBB16_33
.LBB16_59:                              ;   in Loop: Header=BB16_12 Depth=1
	v_cvt_f16_f32_e32 v0, v77
	v_mov_b32_e32 v51, v1
	v_lshl_add_u64 v[10:11], v[50:51], 1, s[30:31]
	global_store_short v[10:11], v0, off
	s_or_b64 exec, exec, s[8:9]
	v_cmp_ne_u32_e64 s[8:9], 0, v4
	s_and_saveexec_b64 s[10:11], s[8:9]
	s_cbranch_execz .LBB16_34
.LBB16_60:                              ;   in Loop: Header=BB16_12 Depth=1
	v_cvt_f16_f32_e32 v12, v76
	v_add_u32_e32 v0, 2, v50
	v_lshl_add_u64 v[10:11], v[0:1], 1, s[24:25]
	global_store_short v[10:11], v12, off
	s_or_b64 exec, exec, s[10:11]
	v_cmp_ne_u32_e64 s[10:11], 0, v5
	s_and_saveexec_b64 s[12:13], s[10:11]
	s_cbranch_execz .LBB16_35
.LBB16_61:                              ;   in Loop: Header=BB16_12 Depth=1
	v_cvt_f16_f32_e32 v12, v75
	v_add_u32_e32 v0, 3, v50
	v_lshl_add_u64 v[10:11], v[0:1], 1, s[24:25]
	global_store_short v[10:11], v12, off
	s_or_b64 exec, exec, s[12:13]
	v_cmp_ne_u32_e64 s[12:13], 0, v6
	s_and_saveexec_b64 s[14:15], s[12:13]
	s_cbranch_execz .LBB16_36
.LBB16_62:                              ;   in Loop: Header=BB16_12 Depth=1
	v_cvt_f16_f32_e32 v12, v74
	v_add_u32_e32 v0, 4, v50
	v_lshl_add_u64 v[10:11], v[0:1], 1, s[24:25]
	global_store_short v[10:11], v12, off
	s_or_b64 exec, exec, s[14:15]
	v_cmp_ne_u32_e64 s[14:15], 0, v7
	s_and_saveexec_b64 s[16:17], s[14:15]
	s_cbranch_execz .LBB16_37
.LBB16_63:                              ;   in Loop: Header=BB16_12 Depth=1
	v_cvt_f16_f32_e32 v12, v73
	v_add_u32_e32 v0, 5, v50
	v_lshl_add_u64 v[10:11], v[0:1], 1, s[24:25]
	global_store_short v[10:11], v12, off
	s_or_b64 exec, exec, s[16:17]
	v_cmp_ne_u32_e64 s[16:17], 0, v8
	s_and_saveexec_b64 s[40:41], s[16:17]
	s_cbranch_execz .LBB16_38
.LBB16_64:                              ;   in Loop: Header=BB16_12 Depth=1
	v_cvt_f16_f32_e32 v12, v72
	v_add_u32_e32 v0, 6, v50
	v_lshl_add_u64 v[10:11], v[0:1], 1, s[24:25]
	global_store_short v[10:11], v12, off
	s_or_b64 exec, exec, s[40:41]
	v_add_u32_e32 v0, s19, v50
	s_and_saveexec_b64 s[40:41], vcc
	s_cbranch_execz .LBB16_39
.LBB16_65:                              ;   in Loop: Header=BB16_12 Depth=1
	v_cvt_f16_f32_e32 v12, v71
	v_lshl_add_u64 v[10:11], v[0:1], 1, s[24:25]
	global_store_short v[10:11], v12, off
	s_or_b64 exec, exec, s[40:41]
	s_and_saveexec_b64 s[40:41], s[6:7]
	s_cbranch_execz .LBB16_40
.LBB16_66:                              ;   in Loop: Header=BB16_12 Depth=1
	v_cvt_f16_f32_e32 v12, v70
	v_add_u32_e32 v10, 1, v0
	v_mov_b32_e32 v11, v1
	v_lshl_add_u64 v[10:11], v[10:11], 1, s[24:25]
	global_store_short v[10:11], v12, off
	s_or_b64 exec, exec, s[40:41]
	s_and_saveexec_b64 s[40:41], s[8:9]
	s_cbranch_execz .LBB16_41
.LBB16_67:                              ;   in Loop: Header=BB16_12 Depth=1
	v_cvt_f16_f32_e32 v12, v69
	v_add_u32_e32 v10, 2, v0
	v_mov_b32_e32 v11, v1
	v_lshl_add_u64 v[10:11], v[10:11], 1, s[24:25]
	global_store_short v[10:11], v12, off
	s_or_b64 exec, exec, s[40:41]
	s_and_saveexec_b64 s[40:41], s[10:11]
	s_cbranch_execz .LBB16_42
.LBB16_68:                              ;   in Loop: Header=BB16_12 Depth=1
	v_cvt_f16_f32_e32 v12, v68
	v_add_u32_e32 v10, 3, v0
	v_mov_b32_e32 v11, v1
	v_lshl_add_u64 v[10:11], v[10:11], 1, s[24:25]
	global_store_short v[10:11], v12, off
	s_or_b64 exec, exec, s[40:41]
	s_and_saveexec_b64 s[40:41], s[12:13]
	s_cbranch_execz .LBB16_43
.LBB16_69:                              ;   in Loop: Header=BB16_12 Depth=1
	v_cvt_f16_f32_e32 v12, v67
	v_add_u32_e32 v10, 4, v0
	v_mov_b32_e32 v11, v1
	v_lshl_add_u64 v[10:11], v[10:11], 1, s[24:25]
	global_store_short v[10:11], v12, off
	s_or_b64 exec, exec, s[40:41]
	s_and_saveexec_b64 s[40:41], s[14:15]
	s_cbranch_execz .LBB16_44
.LBB16_70:                              ;   in Loop: Header=BB16_12 Depth=1
	v_cvt_f16_f32_e32 v12, v66
	v_add_u32_e32 v10, 5, v0
	v_mov_b32_e32 v11, v1
	v_lshl_add_u64 v[10:11], v[10:11], 1, s[24:25]
	global_store_short v[10:11], v12, off
	s_or_b64 exec, exec, s[40:41]
	s_and_saveexec_b64 s[40:41], s[16:17]
	s_cbranch_execz .LBB16_45
.LBB16_71:                              ;   in Loop: Header=BB16_12 Depth=1
	v_cvt_f16_f32_e32 v12, v65
	v_add_u32_e32 v10, 6, v0
	v_mov_b32_e32 v11, v1
	v_lshl_add_u64 v[10:11], v[10:11], 1, s[24:25]
	global_store_short v[10:11], v12, off
	s_or_b64 exec, exec, s[40:41]
	v_add_u32_e32 v0, s19, v0
	s_and_saveexec_b64 s[40:41], vcc
	s_cbranch_execz .LBB16_46
.LBB16_72:                              ;   in Loop: Header=BB16_12 Depth=1
	v_cvt_f16_f32_e32 v12, v64
	v_lshl_add_u64 v[10:11], v[0:1], 1, s[24:25]
	global_store_short v[10:11], v12, off
	s_or_b64 exec, exec, s[40:41]
	s_and_saveexec_b64 s[40:41], s[6:7]
	s_cbranch_execz .LBB16_47
.LBB16_73:                              ;   in Loop: Header=BB16_12 Depth=1
	v_cvt_f16_f32_e32 v12, v63
	v_add_u32_e32 v10, 1, v0
	v_mov_b32_e32 v11, v1
	v_lshl_add_u64 v[10:11], v[10:11], 1, s[24:25]
	global_store_short v[10:11], v12, off
	s_or_b64 exec, exec, s[40:41]
	s_and_saveexec_b64 s[6:7], s[8:9]
	s_cbranch_execz .LBB16_48
.LBB16_74:                              ;   in Loop: Header=BB16_12 Depth=1
	v_cvt_f16_f32_e32 v12, v62
	v_add_u32_e32 v10, 2, v0
	v_mov_b32_e32 v11, v1
	v_lshl_add_u64 v[10:11], v[10:11], 1, s[24:25]
	global_store_short v[10:11], v12, off
	s_or_b64 exec, exec, s[6:7]
	s_and_saveexec_b64 s[6:7], s[10:11]
	s_cbranch_execz .LBB16_49
.LBB16_75:                              ;   in Loop: Header=BB16_12 Depth=1
	v_cvt_f16_f32_e32 v12, v61
	v_add_u32_e32 v10, 3, v0
	v_mov_b32_e32 v11, v1
	v_lshl_add_u64 v[10:11], v[10:11], 1, s[24:25]
	global_store_short v[10:11], v12, off
	s_or_b64 exec, exec, s[6:7]
	s_and_saveexec_b64 s[6:7], s[12:13]
	s_cbranch_execz .LBB16_50
.LBB16_76:                              ;   in Loop: Header=BB16_12 Depth=1
	v_cvt_f16_f32_e32 v12, v60
	v_add_u32_e32 v10, 4, v0
	v_mov_b32_e32 v11, v1
	v_lshl_add_u64 v[10:11], v[10:11], 1, s[24:25]
	global_store_short v[10:11], v12, off
	s_or_b64 exec, exec, s[6:7]
	s_and_saveexec_b64 s[6:7], s[14:15]
	s_cbranch_execz .LBB16_51
.LBB16_77:                              ;   in Loop: Header=BB16_12 Depth=1
	v_cvt_f16_f32_e32 v12, v59
	v_add_u32_e32 v10, 5, v0
	v_mov_b32_e32 v11, v1
	v_lshl_add_u64 v[10:11], v[10:11], 1, s[24:25]
	global_store_short v[10:11], v12, off
	s_or_b64 exec, exec, s[6:7]
	s_and_b64 exec, exec, s[16:17]
	s_cbranch_execnz .LBB16_52
	s_branch .LBB16_53
.LBB16_78:
	s_endpgm
	.section	.rodata,"a",@progbits
	.p2align	6, 0x0
	.amdhsa_kernel _Z16wvSplitK_hf_big_I6__halfLi64ELi7ELi16ELi8ELi1ELi3EEviiPKT_S3_PS1_ii
		.amdhsa_group_segment_fixed_size 65536
		.amdhsa_private_segment_fixed_size 0
		.amdhsa_kernarg_size 40
		.amdhsa_user_sgpr_count 2
		.amdhsa_user_sgpr_dispatch_ptr 0
		.amdhsa_user_sgpr_queue_ptr 0
		.amdhsa_user_sgpr_kernarg_segment_ptr 1
		.amdhsa_user_sgpr_dispatch_id 0
		.amdhsa_user_sgpr_kernarg_preload_length 0
		.amdhsa_user_sgpr_kernarg_preload_offset 0
		.amdhsa_user_sgpr_private_segment_size 0
		.amdhsa_uses_dynamic_stack 0
		.amdhsa_enable_private_segment 0
		.amdhsa_system_sgpr_workgroup_id_x 1
		.amdhsa_system_sgpr_workgroup_id_y 0
		.amdhsa_system_sgpr_workgroup_id_z 0
		.amdhsa_system_sgpr_workgroup_info 0
		.amdhsa_system_vgpr_workitem_id 1
		.amdhsa_next_free_vgpr 79
		.amdhsa_next_free_sgpr 48
		.amdhsa_accum_offset 80
		.amdhsa_reserve_vcc 1
		.amdhsa_float_round_mode_32 0
		.amdhsa_float_round_mode_16_64 0
		.amdhsa_float_denorm_mode_32 3
		.amdhsa_float_denorm_mode_16_64 3
		.amdhsa_dx10_clamp 1
		.amdhsa_ieee_mode 1
		.amdhsa_fp16_overflow 0
		.amdhsa_tg_split 0
		.amdhsa_exception_fp_ieee_invalid_op 0
		.amdhsa_exception_fp_denorm_src 0
		.amdhsa_exception_fp_ieee_div_zero 0
		.amdhsa_exception_fp_ieee_overflow 0
		.amdhsa_exception_fp_ieee_underflow 0
		.amdhsa_exception_fp_ieee_inexact 0
		.amdhsa_exception_int_div_zero 0
	.end_amdhsa_kernel
	.section	.text._Z16wvSplitK_hf_big_I6__halfLi64ELi7ELi16ELi8ELi1ELi3EEviiPKT_S3_PS1_ii,"axG",@progbits,_Z16wvSplitK_hf_big_I6__halfLi64ELi7ELi16ELi8ELi1ELi3EEviiPKT_S3_PS1_ii,comdat
.Lfunc_end16:
	.size	_Z16wvSplitK_hf_big_I6__halfLi64ELi7ELi16ELi8ELi1ELi3EEviiPKT_S3_PS1_ii, .Lfunc_end16-_Z16wvSplitK_hf_big_I6__halfLi64ELi7ELi16ELi8ELi1ELi3EEviiPKT_S3_PS1_ii
                                        ; -- End function
	.section	.AMDGPU.csdata,"",@progbits
; Kernel info:
; codeLenInByte = 5568
; NumSgprs: 54
; NumVgprs: 79
; NumAgprs: 0
; TotalNumVgprs: 79
; ScratchSize: 0
; MemoryBound: 0
; FloatMode: 240
; IeeeMode: 1
; LDSByteSize: 65536 bytes/workgroup (compile time only)
; SGPRBlocks: 6
; VGPRBlocks: 9
; NumSGPRsForWavesPerEU: 54
; NumVGPRsForWavesPerEU: 79
; AccumOffset: 80
; Occupancy: 4
; WaveLimiterHint : 0
; COMPUTE_PGM_RSRC2:SCRATCH_EN: 0
; COMPUTE_PGM_RSRC2:USER_SGPR: 2
; COMPUTE_PGM_RSRC2:TRAP_HANDLER: 0
; COMPUTE_PGM_RSRC2:TGID_X_EN: 1
; COMPUTE_PGM_RSRC2:TGID_Y_EN: 0
; COMPUTE_PGM_RSRC2:TGID_Z_EN: 0
; COMPUTE_PGM_RSRC2:TIDIG_COMP_CNT: 1
; COMPUTE_PGM_RSRC3_GFX90A:ACCUM_OFFSET: 19
; COMPUTE_PGM_RSRC3_GFX90A:TG_SPLIT: 0
	.section	.text._Z16wvSplitK_hf_sml_I6__halfLi64ELi4ELi16ELi8ELi1ELi4EEviiPKT_S3_PS1_ii,"axG",@progbits,_Z16wvSplitK_hf_sml_I6__halfLi64ELi4ELi16ELi8ELi1ELi4EEviiPKT_S3_PS1_ii,comdat
	.protected	_Z16wvSplitK_hf_sml_I6__halfLi64ELi4ELi16ELi8ELi1ELi4EEviiPKT_S3_PS1_ii ; -- Begin function _Z16wvSplitK_hf_sml_I6__halfLi64ELi4ELi16ELi8ELi1ELi4EEviiPKT_S3_PS1_ii
	.globl	_Z16wvSplitK_hf_sml_I6__halfLi64ELi4ELi16ELi8ELi1ELi4EEviiPKT_S3_PS1_ii
	.p2align	8
	.type	_Z16wvSplitK_hf_sml_I6__halfLi64ELi4ELi16ELi8ELi1ELi4EEviiPKT_S3_PS1_ii,@function
_Z16wvSplitK_hf_sml_I6__halfLi64ELi4ELi16ELi8ELi1ELi4EEviiPKT_S3_PS1_ii: ; @_Z16wvSplitK_hf_sml_I6__halfLi64ELi4ELi16ELi8ELi1ELi4EEviiPKT_S3_PS1_ii
; %bb.0:
	s_load_dwordx2 s[4:5], s[0:1], 0x0
	v_and_b32_e32 v2, 0x3ff, v0
	v_bfe_u32 v3, v0, 10, 10
	v_lshlrev_b32_e32 v36, 3, v2
	s_mov_b32 s3, 0
	s_waitcnt lgkmcnt(0)
	s_lshl_b32 s18, s4, 2
	s_cmp_lg_u32 s4, 0
	s_cselect_b64 s[16:17], -1, 0
	s_cmp_eq_u32 s4, 0
	s_cbranch_scc1 .LBB17_6
; %bb.1:
	s_load_dwordx2 s[6:7], s[0:1], 0x10
	v_lshlrev_b32_e32 v0, 4, v2
	s_min_i32 s14, s18, 0x8000
	v_lshl_add_u32 v4, v3, 10, v0
	v_lshl_add_u32 v5, v3, 9, v36
	s_mov_b64 s[8:9], 0
	v_mov_b32_e32 v1, 0
                                        ; implicit-def: $sgpr10_sgpr11
	s_branch .LBB17_3
.LBB17_2:                               ;   in Loop: Header=BB17_3 Depth=1
	s_or_b64 exec, exec, s[12:13]
	s_and_b64 s[12:13], exec, s[10:11]
	s_or_b64 s[8:9], s[12:13], s[8:9]
	s_andn2_b64 exec, exec, s[8:9]
	s_cbranch_execz .LBB17_5
.LBB17_3:                               ; =>This Inner Loop Header: Depth=1
	v_add_u32_e32 v0, s3, v5
	v_cmp_gt_u32_e32 vcc, s14, v0
	s_or_b64 s[10:11], s[10:11], exec
	s_and_saveexec_b64 s[12:13], vcc
	s_cbranch_execz .LBB17_2
; %bb.4:                                ;   in Loop: Header=BB17_3 Depth=1
	s_waitcnt lgkmcnt(0)
	v_lshl_add_u64 v[6:7], v[0:1], 1, s[6:7]
	global_load_dwordx4 v[6:9], v[6:7], off
	s_addk_i32 s3, 0x2000
	s_cmp_ge_u32 s3, s14
	s_cselect_b64 s[20:21], -1, 0
	s_andn2_b64 s[10:11], s[10:11], exec
	s_and_b64 s[20:21], s[20:21], exec
	s_or_b64 s[10:11], s[10:11], s[20:21]
	s_waitcnt vmcnt(0)
	ds_write_b128 v4, v[6:9]
	v_add_u32_e32 v4, 0x4000, v4
	s_branch .LBB17_2
.LBB17_5:
	s_or_b64 exec, exec, s[8:9]
.LBB17_6:
	s_load_dwordx2 s[10:11], s[0:1], 0x20
	s_waitcnt lgkmcnt(0)
	s_barrier
	v_cmp_gt_u32_e32 vcc, s10, v3
	s_and_saveexec_b64 s[6:7], vcc
	s_cbranch_execz .LBB17_17
; %bb.7:
	s_mul_i32 s2, s2, s10
	v_add_u32_e32 v0, s2, v3
	v_lshlrev_b32_e32 v28, 2, v0
	v_cmp_gt_u32_e32 vcc, s5, v28
	s_and_b64 exec, exec, vcc
	s_cbranch_execz .LBB17_17
; %bb.8:
	s_load_dwordx2 s[6:7], s[0:1], 0x8
	s_load_dwordx2 s[8:9], s[0:1], 0x18
	s_mul_i32 s2, s10, s11
	v_mul_lo_u32 v0, s4, v0
	s_lshl_b32 s19, s2, 2
	s_ashr_i32 s11, s4, 31
	s_mov_b32 s10, s4
	v_lshl_add_u32 v38, v0, 2, v36
	s_mul_i32 s2, s2, s4
	v_cndmask_b32_e64 v0, 0, 1, s[16:17]
	v_cmp_eq_u32_e64 s[0:1], 63, v2
	s_lshl_b64 s[12:13], s[10:11], 1
	s_mul_i32 s20, s4, 6
	v_lshlrev_b32_e32 v37, 4, v2
	s_lshl_b32 s21, s4, 1
	s_lshl_b32 s22, s2, 2
	s_mov_b64 s[14:15], 0
	v_cmp_ne_u32_e64 s[2:3], 1, v0
	v_mov_b32_e32 v31, 0
	s_branch .LBB17_10
.LBB17_9:                               ;   in Loop: Header=BB17_10 Depth=1
	s_or_b64 exec, exec, s[16:17]
	v_add_u32_e32 v28, s19, v28
	v_cmp_le_u32_e32 vcc, s5, v28
	s_or_b64 s[14:15], vcc, s[14:15]
	v_add_u32_e32 v38, s22, v38
	s_andn2_b64 exec, exec, s[14:15]
	s_cbranch_execz .LBB17_17
.LBB17_10:                              ; =>This Loop Header: Depth=1
                                        ;     Child Loop BB17_13 Depth 2
	s_mov_b32 s23, 0
	s_and_b64 vcc, exec, s[2:3]
	v_mov_b32_e32 v39, v31
	v_mov_b32_e32 v40, v31
	;; [unrolled: 1-line block ×16, first 2 shown]
	s_cbranch_vccnz .LBB17_15
; %bb.11:                               ;   in Loop: Header=BB17_10 Depth=1
	v_mov_b32_e32 v53, 0
	v_mov_b32_e32 v54, v37
	;; [unrolled: 1-line block ×17, first 2 shown]
	s_branch .LBB17_13
.LBB17_12:                              ;   in Loop: Header=BB17_13 Depth=2
	s_or_b64 exec, exec, s[16:17]
	s_addk_i32 s23, 0x200
	s_cmp_ge_u32 s23, s4
	v_add_u32_e32 v54, 0x400, v54
	s_cbranch_scc1 .LBB17_15
.LBB17_13:                              ;   Parent Loop BB17_10 Depth=1
                                        ; =>  This Inner Loop Header: Depth=2
	v_add_u32_e32 v0, s23, v36
	v_cmp_gt_u32_e32 vcc, s4, v0
	s_and_saveexec_b64 s[16:17], vcc
	s_cbranch_execz .LBB17_12
; %bb.14:                               ;   in Loop: Header=BB17_13 Depth=2
	v_add_u32_e32 v30, s23, v38
	s_waitcnt lgkmcnt(0)
	v_lshl_add_u64 v[0:1], v[30:31], 1, s[6:7]
	global_load_dwordx4 v[24:27], v[0:1], off nt
	v_lshl_add_u64 v[0:1], s[10:11], 1, v[0:1]
	global_load_dwordx4 v[12:15], v[0:1], off nt
	;; [unrolled: 2-line block ×3, first 2 shown]
	v_lshl_add_u64 v[0:1], v[0:1], 0, s[12:13]
	v_add_u32_e32 v16, s21, v54
	v_add_u32_e32 v17, s20, v54
	global_load_dwordx4 v[0:3], v[0:1], off nt
	ds_read_b128 v[4:7], v54
	v_add_u32_e32 v30, s18, v54
	ds_read_b128 v[20:23], v16
	ds_read2_b32 v[34:35], v30 offset1:1
	ds_read_b128 v[16:19], v17
	ds_read2_b32 v[32:33], v30 offset0:2 offset1:3
	s_waitcnt vmcnt(3) lgkmcnt(4)
	;;#ASMSTART
	v_dot2c_f32_f16 v53, v4, v24
	;;#ASMEND
	s_waitcnt lgkmcnt(3)
	;;#ASMSTART
	v_dot2c_f32_f16 v50, v20, v24
	;;#ASMEND
	s_waitcnt lgkmcnt(2)
	;; [unrolled: 4-line block ×3, first 2 shown]
	;;#ASMSTART
	v_dot2c_f32_f16 v42, v16, v24
	;;#ASMEND
	s_waitcnt vmcnt(2)
	;;#ASMSTART
	v_dot2c_f32_f16 v29, v4, v12
	;;#ASMEND
	;;#ASMSTART
	v_dot2c_f32_f16 v49, v20, v12
	;;#ASMEND
	;;#ASMSTART
	v_dot2c_f32_f16 v45, v34, v12
	;;#ASMEND
	;;#ASMSTART
	v_dot2c_f32_f16 v41, v16, v12
	;;#ASMEND
	s_waitcnt vmcnt(1)
	;;#ASMSTART
	v_dot2c_f32_f16 v52, v4, v8
	;;#ASMEND
	;;#ASMSTART
	v_dot2c_f32_f16 v48, v20, v8
	;;#ASMEND
	;;#ASMSTART
	v_dot2c_f32_f16 v44, v34, v8
	;;#ASMEND
	;; [unrolled: 13-line block ×3, first 2 shown]
	;;#ASMSTART
	v_dot2c_f32_f16 v39, v16, v0
	;;#ASMEND
	;;#ASMSTART
	v_dot2c_f32_f16 v53, v5, v25
	;;#ASMEND
	;; [unrolled: 3-line block ×13, first 2 shown]
	s_nop 0
	;;#ASMSTART
	v_dot2c_f32_f16 v51, v5, v1
	;;#ASMEND
	;;#ASMSTART
	v_dot2c_f32_f16 v47, v21, v1
	;;#ASMEND
	;; [unrolled: 3-line block ×6, first 2 shown]
	s_waitcnt lgkmcnt(0)
	;;#ASMSTART
	v_dot2c_f32_f16 v46, v32, v26
	;;#ASMEND
	;;#ASMSTART
	v_dot2c_f32_f16 v42, v18, v26
	;;#ASMEND
	;; [unrolled: 3-line block ×16, first 2 shown]
	s_nop 0
	;;#ASMSTART
	v_dot2c_f32_f16 v46, v33, v27
	;;#ASMEND
	;;#ASMSTART
	v_dot2c_f32_f16 v42, v19, v27
	;;#ASMEND
	;; [unrolled: 3-line block ×14, first 2 shown]
	s_branch .LBB17_12
.LBB17_15:                              ;   in Loop: Header=BB17_10 Depth=1
	;;#ASMSTART
	s_nop 0
	v_add_f32 v53, v53, v53 row_shr:8 bound_ctrl:0 
	;;#ASMEND
	;;#ASMSTART
	s_nop 0
	v_add_f32 v29, v29, v29 row_shr:8 bound_ctrl:0 
	;;#ASMEND
	;; [unrolled: 4-line block ×16, first 2 shown]
	s_nop 0
	;;#ASMSTART
	s_nop 0
	v_add_f32 v53, v53, v53 row_shr:4 bound_ctrl:0 
	;;#ASMEND
	;;#ASMSTART
	s_nop 0
	v_add_f32 v29, v29, v29 row_shr:4 bound_ctrl:0 
	;;#ASMEND
	;; [unrolled: 4-line block ×16, first 2 shown]
	s_nop 0
	;;#ASMSTART
	s_nop 0
	v_add_f32 v53, v53, v53 row_shr:2 bound_ctrl:0 
	;;#ASMEND
	;;#ASMSTART
	s_nop 0
	v_add_f32 v29, v29, v29 row_shr:2 bound_ctrl:0 
	;;#ASMEND
	;; [unrolled: 4-line block ×16, first 2 shown]
	s_nop 0
	;;#ASMSTART
	s_nop 0
	v_add_f32 v53, v53, v53 wave_shr:1 bound_ctrl:0
	;;#ASMEND
	;;#ASMSTART
	s_nop 0
	v_add_f32 v29, v29, v29 wave_shr:1 bound_ctrl:0
	;;#ASMEND
	;; [unrolled: 4-line block ×16, first 2 shown]
	s_nop 0
	;;#ASMSTART
	s_nop 0
	v_add_f32 v53, v53, v53 row_bcast:15 bound_ctrl:0
	;;#ASMEND
	;;#ASMSTART
	s_nop 0
	v_add_f32 v29, v29, v29 row_bcast:15 bound_ctrl:0
	;;#ASMEND
	;; [unrolled: 4-line block ×16, first 2 shown]
	s_nop 0
	;;#ASMSTART
	s_nop 0
	v_add_f32 v53, v53, v53 row_bcast:31 bound_ctrl:0
	;;#ASMEND
	;;#ASMSTART
	s_nop 0
	v_add_f32 v29, v29, v29 row_bcast:31 bound_ctrl:0
	;;#ASMEND
	;; [unrolled: 4-line block ×16, first 2 shown]
	s_and_saveexec_b64 s[16:17], s[0:1]
	s_cbranch_execz .LBB17_9
; %bb.16:                               ;   in Loop: Header=BB17_10 Depth=1
	v_cvt_f16_f32_e32 v3, v52
	v_cvt_f16_f32_e32 v4, v51
	v_cvt_f16_f32_e32 v2, v53
	v_cvt_f16_f32_e32 v5, v29
	v_mov_b32_e32 v29, v31
	v_pack_b32_f16 v3, v3, v4
	v_cvt_f16_f32_e32 v4, v50
	s_waitcnt lgkmcnt(0)
	v_lshl_add_u64 v[0:1], v[28:29], 1, s[8:9]
	v_pack_b32_f16 v2, v2, v5
	global_store_dwordx2 v[0:1], v[2:3], off
	v_add_u32_e32 v30, s5, v28
	v_cvt_f16_f32_e32 v2, v49
	v_lshl_add_u64 v[0:1], v[30:31], 1, s[8:9]
	global_store_short v[0:1], v4, off
	v_add_u32_e32 v0, 1, v30
	v_mov_b32_e32 v1, v31
	v_lshl_add_u64 v[0:1], v[0:1], 1, s[8:9]
	global_store_short v[0:1], v2, off
	v_cvt_f16_f32_e32 v2, v48
	v_add_u32_e32 v0, 2, v30
	v_mov_b32_e32 v1, v31
	v_lshl_add_u64 v[0:1], v[0:1], 1, s[8:9]
	global_store_short v[0:1], v2, off
	v_cvt_f16_f32_e32 v2, v47
	v_cvt_f16_f32_e32 v3, v46
	;; [unrolled: 1-line block ×3, first 2 shown]
	v_add_u32_e32 v0, 3, v30
	v_mov_b32_e32 v1, v31
	v_lshl_add_u64 v[0:1], v[0:1], 1, s[8:9]
	v_add_u32_e32 v30, s5, v30
	global_store_short v[0:1], v2, off
	v_lshl_add_u64 v[0:1], v[30:31], 1, s[8:9]
	v_pack_b32_f16 v2, v3, v4
	global_store_dword v[0:1], v2, off
	v_cvt_f16_f32_e32 v2, v44
	v_add_u32_e32 v0, 2, v30
	v_mov_b32_e32 v1, v31
	v_lshl_add_u64 v[0:1], v[0:1], 1, s[8:9]
	global_store_short v[0:1], v2, off
	v_cvt_f16_f32_e32 v2, v43
	v_add_u32_e32 v0, 3, v30
	v_mov_b32_e32 v1, v31
	v_cvt_f16_f32_e32 v3, v42
	v_lshl_add_u64 v[0:1], v[0:1], 1, s[8:9]
	global_store_short v[0:1], v2, off
	v_add_u32_e32 v30, s5, v30
	v_cvt_f16_f32_e32 v2, v41
	v_lshl_add_u64 v[0:1], v[30:31], 1, s[8:9]
	global_store_short v[0:1], v3, off
	v_add_u32_e32 v0, 1, v30
	v_mov_b32_e32 v1, v31
	v_lshl_add_u64 v[0:1], v[0:1], 1, s[8:9]
	global_store_short v[0:1], v2, off
	v_cvt_f16_f32_e32 v2, v40
	v_cvt_f16_f32_e32 v3, v39
	v_add_u32_e32 v0, 2, v30
	v_mov_b32_e32 v1, v31
	v_lshl_add_u64 v[0:1], v[0:1], 1, s[8:9]
	v_add_u32_e32 v30, 3, v30
	global_store_short v[0:1], v2, off
	v_lshl_add_u64 v[0:1], v[30:31], 1, s[8:9]
	global_store_short v[0:1], v3, off
	s_branch .LBB17_9
.LBB17_17:
	s_endpgm
	.section	.rodata,"a",@progbits
	.p2align	6, 0x0
	.amdhsa_kernel _Z16wvSplitK_hf_sml_I6__halfLi64ELi4ELi16ELi8ELi1ELi4EEviiPKT_S3_PS1_ii
		.amdhsa_group_segment_fixed_size 65536
		.amdhsa_private_segment_fixed_size 0
		.amdhsa_kernarg_size 40
		.amdhsa_user_sgpr_count 2
		.amdhsa_user_sgpr_dispatch_ptr 0
		.amdhsa_user_sgpr_queue_ptr 0
		.amdhsa_user_sgpr_kernarg_segment_ptr 1
		.amdhsa_user_sgpr_dispatch_id 0
		.amdhsa_user_sgpr_kernarg_preload_length 0
		.amdhsa_user_sgpr_kernarg_preload_offset 0
		.amdhsa_user_sgpr_private_segment_size 0
		.amdhsa_uses_dynamic_stack 0
		.amdhsa_enable_private_segment 0
		.amdhsa_system_sgpr_workgroup_id_x 1
		.amdhsa_system_sgpr_workgroup_id_y 0
		.amdhsa_system_sgpr_workgroup_id_z 0
		.amdhsa_system_sgpr_workgroup_info 0
		.amdhsa_system_vgpr_workitem_id 1
		.amdhsa_next_free_vgpr 55
		.amdhsa_next_free_sgpr 24
		.amdhsa_accum_offset 56
		.amdhsa_reserve_vcc 1
		.amdhsa_float_round_mode_32 0
		.amdhsa_float_round_mode_16_64 0
		.amdhsa_float_denorm_mode_32 3
		.amdhsa_float_denorm_mode_16_64 3
		.amdhsa_dx10_clamp 1
		.amdhsa_ieee_mode 1
		.amdhsa_fp16_overflow 0
		.amdhsa_tg_split 0
		.amdhsa_exception_fp_ieee_invalid_op 0
		.amdhsa_exception_fp_denorm_src 0
		.amdhsa_exception_fp_ieee_div_zero 0
		.amdhsa_exception_fp_ieee_overflow 0
		.amdhsa_exception_fp_ieee_underflow 0
		.amdhsa_exception_fp_ieee_inexact 0
		.amdhsa_exception_int_div_zero 0
	.end_amdhsa_kernel
	.section	.text._Z16wvSplitK_hf_sml_I6__halfLi64ELi4ELi16ELi8ELi1ELi4EEviiPKT_S3_PS1_ii,"axG",@progbits,_Z16wvSplitK_hf_sml_I6__halfLi64ELi4ELi16ELi8ELi1ELi4EEviiPKT_S3_PS1_ii,comdat
.Lfunc_end17:
	.size	_Z16wvSplitK_hf_sml_I6__halfLi64ELi4ELi16ELi8ELi1ELi4EEviiPKT_S3_PS1_ii, .Lfunc_end17-_Z16wvSplitK_hf_sml_I6__halfLi64ELi4ELi16ELi8ELi1ELi4EEviiPKT_S3_PS1_ii
                                        ; -- End function
	.section	.AMDGPU.csdata,"",@progbits
; Kernel info:
; codeLenInByte = 3204
; NumSgprs: 30
; NumVgprs: 55
; NumAgprs: 0
; TotalNumVgprs: 55
; ScratchSize: 0
; MemoryBound: 0
; FloatMode: 240
; IeeeMode: 1
; LDSByteSize: 65536 bytes/workgroup (compile time only)
; SGPRBlocks: 3
; VGPRBlocks: 6
; NumSGPRsForWavesPerEU: 30
; NumVGPRsForWavesPerEU: 55
; AccumOffset: 56
; Occupancy: 4
; WaveLimiterHint : 0
; COMPUTE_PGM_RSRC2:SCRATCH_EN: 0
; COMPUTE_PGM_RSRC2:USER_SGPR: 2
; COMPUTE_PGM_RSRC2:TRAP_HANDLER: 0
; COMPUTE_PGM_RSRC2:TGID_X_EN: 1
; COMPUTE_PGM_RSRC2:TGID_Y_EN: 0
; COMPUTE_PGM_RSRC2:TGID_Z_EN: 0
; COMPUTE_PGM_RSRC2:TIDIG_COMP_CNT: 1
; COMPUTE_PGM_RSRC3_GFX90A:ACCUM_OFFSET: 13
; COMPUTE_PGM_RSRC3_GFX90A:TG_SPLIT: 0
	.section	.text._Z12wvSplitK_hf_I6__halfLi64ELi7ELi16ELi8ELi1ELi4EEviiPKT_S3_PS1_ii,"axG",@progbits,_Z12wvSplitK_hf_I6__halfLi64ELi7ELi16ELi8ELi1ELi4EEviiPKT_S3_PS1_ii,comdat
	.protected	_Z12wvSplitK_hf_I6__halfLi64ELi7ELi16ELi8ELi1ELi4EEviiPKT_S3_PS1_ii ; -- Begin function _Z12wvSplitK_hf_I6__halfLi64ELi7ELi16ELi8ELi1ELi4EEviiPKT_S3_PS1_ii
	.globl	_Z12wvSplitK_hf_I6__halfLi64ELi7ELi16ELi8ELi1ELi4EEviiPKT_S3_PS1_ii
	.p2align	8
	.type	_Z12wvSplitK_hf_I6__halfLi64ELi7ELi16ELi8ELi1ELi4EEviiPKT_S3_PS1_ii,@function
_Z12wvSplitK_hf_I6__halfLi64ELi7ELi16ELi8ELi1ELi4EEviiPKT_S3_PS1_ii: ; @_Z12wvSplitK_hf_I6__halfLi64ELi7ELi16ELi8ELi1ELi4EEviiPKT_S3_PS1_ii
; %bb.0:
	s_load_dwordx2 s[12:13], s[0:1], 0x20
	s_load_dwordx2 s[16:17], s[0:1], 0x0
	;; [unrolled: 1-line block ×3, first 2 shown]
	v_bfe_u32 v9, v0, 10, 10
	s_mov_b32 s4, 1
	s_waitcnt lgkmcnt(0)
	s_mul_i32 s2, s2, s12
	v_add_u32_e32 v1, s2, v9
	v_mul_lo_u32 v54, v1, 7
	v_add_u32_e32 v1, 7, v54
	v_cmp_gt_u32_e32 vcc, s17, v54
	v_cmp_le_u32_e64 s[2:3], s17, v1
	s_mov_b32 s5, s4
	s_mov_b32 s6, s4
	;; [unrolled: 1-line block ×6, first 2 shown]
	v_mov_b32_e32 v2, s4
	s_and_b64 s[14:15], vcc, s[2:3]
	v_mov_b32_e32 v3, s5
	v_mov_b32_e32 v4, s6
	;; [unrolled: 1-line block ×6, first 2 shown]
	s_and_saveexec_b64 s[2:3], s[14:15]
	s_cbranch_execz .LBB18_6
; %bb.1:
	s_add_i32 s11, s17, -7
	v_mov_b32_e32 v2, s4
	v_cmp_ne_u32_e32 vcc, s11, v54
	v_mov_b32_e32 v3, s5
	v_mov_b32_e32 v4, s6
	;; [unrolled: 1-line block ×6, first 2 shown]
	s_and_saveexec_b64 s[14:15], vcc
	s_cbranch_execz .LBB18_5
; %bb.2:
	v_subrev_u32_e32 v1, s11, v54
	v_cmp_lt_u32_e32 vcc, 1, v1
	s_mov_b64 s[20:21], 0
	s_mov_b64 s[22:23], 0
	v_cndmask_b32_e32 v10, 1, v1, vcc
	s_mov_b32 s5, s4
	s_mov_b32 s6, s4
	;; [unrolled: 1-line block ×6, first 2 shown]
.LBB18_3:                               ; =>This Inner Loop Header: Depth=1
	s_cmp_lg_u32 s22, 6
	s_cselect_b32 s10, s10, 0
	s_cmp_lg_u32 s22, 5
	s_cselect_b32 s9, s9, 0
	;; [unrolled: 2-line block ×7, first 2 shown]
	s_add_u32 s22, s22, 1
	s_addc_u32 s23, s23, 0
	v_cmp_eq_u32_e32 vcc, s22, v10
	v_mov_b32_e32 v2, s4
	s_or_b64 s[20:21], vcc, s[20:21]
	v_mov_b32_e32 v3, s5
	v_mov_b32_e32 v4, s6
	;; [unrolled: 1-line block ×6, first 2 shown]
	s_andn2_b64 exec, exec, s[20:21]
	s_cbranch_execnz .LBB18_3
; %bb.4:
	s_or_b64 exec, exec, s[20:21]
	v_mov_b32_e32 v54, s11
.LBB18_5:
	s_or_b64 exec, exec, s[14:15]
.LBB18_6:
	s_or_b64 exec, exec, s[2:3]
	s_lshl_b32 s33, s16, 2
	v_and_b32_e32 v12, 0x3ff, v0
	s_cmp_lg_u32 s16, 0
	v_lshlrev_b32_e32 v0, 3, v12
	s_mov_b32 s10, 0
	s_cselect_b64 s[4:5], -1, 0
	s_cmp_eq_u32 s16, 0
	v_lshlrev_b32_e32 v1, 4, v12
	s_cbranch_scc1 .LBB18_12
; %bb.7:
	v_lshlrev_b32_e32 v10, 4, v12
	s_min_i32 s11, s33, 0x8000
	v_lshl_add_u32 v13, v9, 10, v10
	v_lshl_add_u32 v14, v9, 9, v0
	s_mov_b64 s[2:3], 0
	v_mov_b32_e32 v11, 0
                                        ; implicit-def: $sgpr6_sgpr7
	s_branch .LBB18_9
.LBB18_8:                               ;   in Loop: Header=BB18_9 Depth=1
	s_or_b64 exec, exec, s[8:9]
	s_and_b64 s[8:9], exec, s[6:7]
	s_or_b64 s[2:3], s[8:9], s[2:3]
	s_andn2_b64 exec, exec, s[2:3]
	s_cbranch_execz .LBB18_11
.LBB18_9:                               ; =>This Inner Loop Header: Depth=1
	v_add_u32_e32 v10, s10, v14
	v_cmp_gt_u32_e32 vcc, s11, v10
	s_or_b64 s[6:7], s[6:7], exec
	s_and_saveexec_b64 s[8:9], vcc
	s_cbranch_execz .LBB18_8
; %bb.10:                               ;   in Loop: Header=BB18_9 Depth=1
	v_lshl_add_u64 v[16:17], v[10:11], 1, s[18:19]
	global_load_dwordx4 v[16:19], v[16:17], off
	s_addk_i32 s10, 0x2000
	s_cmp_ge_u32 s10, s11
	s_cselect_b64 s[14:15], -1, 0
	s_andn2_b64 s[6:7], s[6:7], exec
	s_and_b64 s[14:15], s[14:15], exec
	s_or_b64 s[6:7], s[6:7], s[14:15]
	s_waitcnt vmcnt(0)
	ds_write_b128 v13, v[16:19]
	v_add_u32_e32 v13, 0x4000, v13
	s_branch .LBB18_8
.LBB18_11:
	s_or_b64 exec, exec, s[2:3]
.LBB18_12:
	v_cmp_gt_u32_e32 vcc, s12, v9
	v_cmp_gt_u32_e64 s[2:3], s17, v54
	s_and_b64 s[2:3], vcc, s[2:3]
	s_waitcnt lgkmcnt(0)
	s_barrier
	s_and_saveexec_b64 s[6:7], s[2:3]
	s_cbranch_execz .LBB18_108
; %bb.13:
	s_load_dwordx2 s[20:21], s[0:1], 0x8
	s_load_dwordx2 s[22:23], s[0:1], 0x18
	s_mul_i32 s36, s12, s13
	s_ashr_i32 s25, s16, 31
	s_mov_b32 s24, s16
	s_lshl_b32 s38, s16, 1
	v_mad_u64_u32 v[56:57], s[2:3], s16, 3, v[0:1]
	v_cndmask_b32_e64 v10, 0, 1, s[4:5]
	v_cmp_eq_u32_e64 s[0:1], 63, v12
	s_mul_i32 s36, s36, 7
	s_add_i32 s37, s17, -7
	s_lshl_b64 s[26:27], s[24:25], 1
	v_add_u32_e32 v9, s38, v0
	s_mul_i32 s39, s16, 6
	v_add_u32_e32 v57, s16, v0
	s_mov_b64 s[28:29], 0
	v_cmp_ne_u32_e64 s[2:3], 1, v10
	v_mov_b32_e32 v59, 0
	s_movk_i32 s40, 0x7fff
                                        ; implicit-def: $vgpr34_vgpr35_vgpr36_vgpr37
                                        ; implicit-def: $vgpr30_vgpr31_vgpr32_vgpr33
                                        ; implicit-def: $vgpr26_vgpr27_vgpr28_vgpr29
                                        ; implicit-def: $vgpr22_vgpr23_vgpr24_vgpr25
                                        ; implicit-def: $vgpr18_vgpr19_vgpr20_vgpr21
                                        ; implicit-def: $vgpr14_vgpr15_vgpr16_vgpr17
                                        ; implicit-def: $vgpr10_vgpr11_vgpr12_vgpr13
                                        ; implicit-def: $vgpr40_vgpr41
                                        ; implicit-def: $vgpr44_vgpr45
                                        ; implicit-def: $vgpr48_vgpr49
                                        ; implicit-def: $vgpr52_vgpr53
	s_branch .LBB18_16
.LBB18_14:                              ;   in Loop: Header=BB18_16 Depth=1
	s_or_b64 exec, exec, s[8:9]
	v_mov_b32_e32 v54, s37
.LBB18_15:                              ;   in Loop: Header=BB18_16 Depth=1
	s_or_b64 exec, exec, s[6:7]
	v_cmp_le_u32_e32 vcc, s17, v54
	s_or_b64 s[28:29], vcc, s[28:29]
	s_andn2_b64 exec, exec, s[28:29]
	s_cbranch_execz .LBB18_108
.LBB18_16:                              ; =>This Loop Header: Depth=1
                                        ;     Child Loop BB18_19 Depth 2
                                        ;     Child Loop BB18_79 Depth 2
	s_and_b64 vcc, exec, s[2:3]
	s_mov_b32 s8, 0
	s_cbranch_vccnz .LBB18_45
; %bb.17:                               ;   in Loop: Header=BB18_16 Depth=1
	v_mad_u64_u32 v[60:61], s[4:5], v54, s16, v[0:1]
	v_mov_b32_e32 v61, 0
	v_mov_b32_e32 v90, v1
	v_mov_b32_e32 v64, 0
	v_mov_b32_e32 v65, 0
	v_mov_b32_e32 v66, 0
	v_mov_b32_e32 v67, 0
	v_mov_b32_e32 v68, 0
	v_mov_b32_e32 v69, 0
	v_mov_b32_e32 v70, 0
	v_mov_b32_e32 v71, 0
	v_mov_b32_e32 v72, 0
	v_mov_b32_e32 v73, 0
	v_mov_b32_e32 v74, 0
	v_mov_b32_e32 v75, 0
	v_mov_b32_e32 v76, 0
	v_mov_b32_e32 v77, 0
	v_mov_b32_e32 v78, 0
	v_mov_b32_e32 v79, 0
	v_mov_b32_e32 v80, 0
	v_mov_b32_e32 v81, 0
	v_mov_b32_e32 v82, 0
	v_mov_b32_e32 v83, 0
	v_mov_b32_e32 v84, 0
	v_mov_b32_e32 v85, 0
	v_mov_b32_e32 v86, 0
	v_mov_b32_e32 v87, 0
	v_mov_b32_e32 v88, 0
	v_mov_b32_e32 v89, 0
	v_mov_b32_e32 v55, 0
	s_branch .LBB18_19
.LBB18_18:                              ;   in Loop: Header=BB18_19 Depth=2
	s_or_b64 exec, exec, s[4:5]
	s_addk_i32 s8, 0x200
	s_cmp_ge_u32 s8, s16
	v_add_u32_e32 v90, 0x400, v90
	s_cbranch_scc1 .LBB18_46
.LBB18_19:                              ;   Parent Loop BB18_16 Depth=1
                                        ; =>  This Inner Loop Header: Depth=2
	v_add_u32_e32 v62, s8, v0
	v_cmp_gt_u32_e32 vcc, s16, v62
	s_and_saveexec_b64 s[6:7], vcc
	s_cbranch_execnz .LBB18_24
; %bb.20:                               ;   in Loop: Header=BB18_19 Depth=2
	s_or_b64 exec, exec, s[6:7]
	s_and_saveexec_b64 s[4:5], vcc
	s_cbranch_execnz .LBB18_41
.LBB18_21:                              ;   in Loop: Header=BB18_19 Depth=2
	s_or_b64 exec, exec, s[4:5]
	s_and_saveexec_b64 s[4:5], vcc
	s_cbranch_execnz .LBB18_42
.LBB18_22:                              ;   in Loop: Header=BB18_19 Depth=2
	s_or_b64 exec, exec, s[4:5]
	s_and_saveexec_b64 s[4:5], vcc
	s_cbranch_execnz .LBB18_43
.LBB18_23:                              ;   in Loop: Header=BB18_19 Depth=2
	s_or_b64 exec, exec, s[4:5]
	s_and_saveexec_b64 s[4:5], vcc
	s_cbranch_execz .LBB18_18
	s_branch .LBB18_44
.LBB18_24:                              ;   in Loop: Header=BB18_19 Depth=2
	v_add_u32_e32 v58, s8, v60
	s_waitcnt vmcnt(4) lgkmcnt(0)
	v_lshl_add_u64 v[18:19], v[58:59], 1, s[20:21]
	v_lshl_add_u64 v[20:21], s[24:25], 1, v[18:19]
	global_load_dwordx4 v[10:13], v[18:19], off nt
	global_load_dwordx4 v[14:17], v[20:21], off nt
	v_lshl_add_u64 v[18:19], v[20:21], 0, s[26:27]
	s_waitcnt vmcnt(4)
	v_lshl_add_u64 v[26:27], v[18:19], 0, s[26:27]
	global_load_dwordx4 v[18:21], v[18:19], off nt
	s_nop 0
	global_load_dwordx4 v[22:25], v[26:27], off nt
	v_lshl_add_u64 v[26:27], v[26:27], 0, s[26:27]
	s_waitcnt vmcnt(4)
	v_lshl_add_u64 v[34:35], v[26:27], 0, s[26:27]
	global_load_dwordx4 v[26:29], v[26:27], off nt
	s_nop 0
	global_load_dwordx4 v[30:33], v[34:35], off nt
	v_lshl_add_u64 v[34:35], v[34:35], 0, s[26:27]
	global_load_dwordx4 v[34:37], v[34:35], off nt
	v_cmp_lt_u32_e64 s[4:5], s40, v62
                                        ; implicit-def: $vgpr38_vgpr39
	s_and_saveexec_b64 s[10:11], s[4:5]
	s_xor_b64 s[4:5], exec, s[10:11]
	s_cbranch_execz .LBB18_26
; %bb.25:                               ;   in Loop: Header=BB18_19 Depth=2
	v_mov_b32_e32 v63, v59
	v_lshl_add_u64 v[38:39], v[62:63], 1, s[18:19]
	global_load_dwordx4 v[38:41], v[38:39], off
.LBB18_26:                              ;   in Loop: Header=BB18_19 Depth=2
	s_andn2_saveexec_b64 s[4:5], s[4:5]
	s_cbranch_execz .LBB18_28
; %bb.27:                               ;   in Loop: Header=BB18_19 Depth=2
	s_waitcnt vmcnt(0)
	ds_read_b128 v[38:41], v90
.LBB18_28:                              ;   in Loop: Header=BB18_19 Depth=2
	s_or_b64 exec, exec, s[4:5]
	v_add_u32_e32 v58, s8, v57
	v_cmp_lt_u32_e64 s[4:5], s40, v58
                                        ; implicit-def: $vgpr42_vgpr43
	s_and_saveexec_b64 s[10:11], s[4:5]
	s_xor_b64 s[4:5], exec, s[10:11]
	s_cbranch_execz .LBB18_30
; %bb.29:                               ;   in Loop: Header=BB18_19 Depth=2
	v_lshl_add_u64 v[42:43], v[58:59], 1, s[18:19]
	global_load_dwordx4 v[42:45], v[42:43], off
.LBB18_30:                              ;   in Loop: Header=BB18_19 Depth=2
	s_andn2_saveexec_b64 s[4:5], s[4:5]
	s_cbranch_execz .LBB18_32
; %bb.31:                               ;   in Loop: Header=BB18_19 Depth=2
	s_waitcnt vmcnt(0)
	v_add_u32_e32 v42, s38, v90
	ds_read_b128 v[42:45], v42
.LBB18_32:                              ;   in Loop: Header=BB18_19 Depth=2
	s_or_b64 exec, exec, s[4:5]
	v_add_u32_e32 v58, s8, v9
	v_cmp_lt_u32_e64 s[4:5], s40, v58
                                        ; implicit-def: $vgpr46_vgpr47
	s_and_saveexec_b64 s[10:11], s[4:5]
	s_xor_b64 s[4:5], exec, s[10:11]
	s_cbranch_execz .LBB18_34
; %bb.33:                               ;   in Loop: Header=BB18_19 Depth=2
	v_lshl_add_u64 v[46:47], v[58:59], 1, s[18:19]
	global_load_dwordx4 v[46:49], v[46:47], off
.LBB18_34:                              ;   in Loop: Header=BB18_19 Depth=2
	s_andn2_saveexec_b64 s[4:5], s[4:5]
	s_cbranch_execz .LBB18_36
; %bb.35:                               ;   in Loop: Header=BB18_19 Depth=2
	s_waitcnt vmcnt(0)
	v_add_u32_e32 v48, s33, v90
	ds_read2_b32 v[46:47], v48 offset1:1
	ds_read2_b32 v[48:49], v48 offset0:2 offset1:3
.LBB18_36:                              ;   in Loop: Header=BB18_19 Depth=2
	s_or_b64 exec, exec, s[4:5]
	v_add_u32_e32 v58, s8, v56
	v_cmp_lt_u32_e64 s[4:5], s40, v58
                                        ; implicit-def: $vgpr50_vgpr51
	s_and_saveexec_b64 s[10:11], s[4:5]
	s_xor_b64 s[4:5], exec, s[10:11]
	s_cbranch_execz .LBB18_38
; %bb.37:                               ;   in Loop: Header=BB18_19 Depth=2
	v_lshl_add_u64 v[50:51], v[58:59], 1, s[18:19]
	global_load_dwordx4 v[50:53], v[50:51], off
.LBB18_38:                              ;   in Loop: Header=BB18_19 Depth=2
	s_andn2_saveexec_b64 s[4:5], s[4:5]
	s_cbranch_execz .LBB18_40
; %bb.39:                               ;   in Loop: Header=BB18_19 Depth=2
	s_waitcnt vmcnt(0)
	v_add_u32_e32 v50, s39, v90
	ds_read_b128 v[50:53], v50
.LBB18_40:                              ;   in Loop: Header=BB18_19 Depth=2
	s_or_b64 exec, exec, s[4:5]
	s_or_b64 exec, exec, s[6:7]
	s_and_saveexec_b64 s[4:5], vcc
	s_cbranch_execz .LBB18_21
.LBB18_41:                              ;   in Loop: Header=BB18_19 Depth=2
	s_waitcnt vmcnt(0) lgkmcnt(0)
	;;#ASMSTART
	v_dot2c_f32_f16 v55, v38, v10
	;;#ASMEND
	;;#ASMSTART
	v_dot2c_f32_f16 v89, v38, v14
	;;#ASMEND
	;;#ASMSTART
	v_dot2c_f32_f16 v88, v38, v18
	;;#ASMEND
	;;#ASMSTART
	v_dot2c_f32_f16 v87, v38, v22
	;;#ASMEND
	;;#ASMSTART
	v_dot2c_f32_f16 v86, v38, v26
	;;#ASMEND
	;;#ASMSTART
	v_dot2c_f32_f16 v85, v38, v30
	;;#ASMEND
	;;#ASMSTART
	v_dot2c_f32_f16 v84, v38, v34
	;;#ASMEND
	s_nop 0
	;;#ASMSTART
	v_dot2c_f32_f16 v55, v39, v11
	;;#ASMEND
	;;#ASMSTART
	v_dot2c_f32_f16 v89, v39, v15
	;;#ASMEND
	;;#ASMSTART
	v_dot2c_f32_f16 v88, v39, v19
	;;#ASMEND
	;;#ASMSTART
	v_dot2c_f32_f16 v87, v39, v23
	;;#ASMEND
	;;#ASMSTART
	v_dot2c_f32_f16 v86, v39, v27
	;;#ASMEND
	;;#ASMSTART
	v_dot2c_f32_f16 v85, v39, v31
	;;#ASMEND
	;;#ASMSTART
	v_dot2c_f32_f16 v84, v39, v35
	;;#ASMEND
	s_nop 0
	;; [unrolled: 22-line block ×3, first 2 shown]
	;;#ASMSTART
	v_dot2c_f32_f16 v55, v41, v13
	;;#ASMEND
	;;#ASMSTART
	v_dot2c_f32_f16 v89, v41, v17
	;;#ASMEND
	;; [unrolled: 3-line block ×7, first 2 shown]
	s_or_b64 exec, exec, s[4:5]
	s_and_saveexec_b64 s[4:5], vcc
	s_cbranch_execz .LBB18_22
.LBB18_42:                              ;   in Loop: Header=BB18_19 Depth=2
	s_waitcnt vmcnt(0) lgkmcnt(0)
	;;#ASMSTART
	v_dot2c_f32_f16 v83, v42, v10
	;;#ASMEND
	;;#ASMSTART
	v_dot2c_f32_f16 v82, v42, v14
	;;#ASMEND
	;;#ASMSTART
	v_dot2c_f32_f16 v81, v42, v18
	;;#ASMEND
	;;#ASMSTART
	v_dot2c_f32_f16 v80, v42, v22
	;;#ASMEND
	;;#ASMSTART
	v_dot2c_f32_f16 v79, v42, v26
	;;#ASMEND
	;;#ASMSTART
	v_dot2c_f32_f16 v78, v42, v30
	;;#ASMEND
	;;#ASMSTART
	v_dot2c_f32_f16 v77, v42, v34
	;;#ASMEND
	s_nop 0
	;;#ASMSTART
	v_dot2c_f32_f16 v83, v43, v11
	;;#ASMEND
	;;#ASMSTART
	v_dot2c_f32_f16 v82, v43, v15
	;;#ASMEND
	;;#ASMSTART
	v_dot2c_f32_f16 v81, v43, v19
	;;#ASMEND
	;;#ASMSTART
	v_dot2c_f32_f16 v80, v43, v23
	;;#ASMEND
	;;#ASMSTART
	v_dot2c_f32_f16 v79, v43, v27
	;;#ASMEND
	;;#ASMSTART
	v_dot2c_f32_f16 v78, v43, v31
	;;#ASMEND
	;;#ASMSTART
	v_dot2c_f32_f16 v77, v43, v35
	;;#ASMEND
	s_nop 0
	;; [unrolled: 22-line block ×3, first 2 shown]
	;;#ASMSTART
	v_dot2c_f32_f16 v83, v45, v13
	;;#ASMEND
	;;#ASMSTART
	v_dot2c_f32_f16 v82, v45, v17
	;;#ASMEND
	;;#ASMSTART
	v_dot2c_f32_f16 v81, v45, v21
	;;#ASMEND
	;;#ASMSTART
	v_dot2c_f32_f16 v80, v45, v25
	;;#ASMEND
	;;#ASMSTART
	v_dot2c_f32_f16 v79, v45, v29
	;;#ASMEND
	;;#ASMSTART
	v_dot2c_f32_f16 v78, v45, v33
	;;#ASMEND
	;;#ASMSTART
	v_dot2c_f32_f16 v77, v45, v37
	;;#ASMEND
	s_or_b64 exec, exec, s[4:5]
	s_and_saveexec_b64 s[4:5], vcc
	s_cbranch_execz .LBB18_23
.LBB18_43:                              ;   in Loop: Header=BB18_19 Depth=2
	s_waitcnt vmcnt(0) lgkmcnt(0)
	;;#ASMSTART
	v_dot2c_f32_f16 v76, v46, v10
	;;#ASMEND
	;;#ASMSTART
	v_dot2c_f32_f16 v75, v46, v14
	;;#ASMEND
	;;#ASMSTART
	v_dot2c_f32_f16 v74, v46, v18
	;;#ASMEND
	;;#ASMSTART
	v_dot2c_f32_f16 v73, v46, v22
	;;#ASMEND
	;;#ASMSTART
	v_dot2c_f32_f16 v72, v46, v26
	;;#ASMEND
	;;#ASMSTART
	v_dot2c_f32_f16 v71, v46, v30
	;;#ASMEND
	;;#ASMSTART
	v_dot2c_f32_f16 v70, v46, v34
	;;#ASMEND
	s_nop 0
	;;#ASMSTART
	v_dot2c_f32_f16 v76, v47, v11
	;;#ASMEND
	;;#ASMSTART
	v_dot2c_f32_f16 v75, v47, v15
	;;#ASMEND
	;;#ASMSTART
	v_dot2c_f32_f16 v74, v47, v19
	;;#ASMEND
	;;#ASMSTART
	v_dot2c_f32_f16 v73, v47, v23
	;;#ASMEND
	;;#ASMSTART
	v_dot2c_f32_f16 v72, v47, v27
	;;#ASMEND
	;;#ASMSTART
	v_dot2c_f32_f16 v71, v47, v31
	;;#ASMEND
	;;#ASMSTART
	v_dot2c_f32_f16 v70, v47, v35
	;;#ASMEND
	s_nop 0
	;; [unrolled: 22-line block ×3, first 2 shown]
	;;#ASMSTART
	v_dot2c_f32_f16 v76, v49, v13
	;;#ASMEND
	;;#ASMSTART
	v_dot2c_f32_f16 v75, v49, v17
	;;#ASMEND
	;; [unrolled: 3-line block ×7, first 2 shown]
	s_or_b64 exec, exec, s[4:5]
	s_and_saveexec_b64 s[4:5], vcc
	s_cbranch_execz .LBB18_18
.LBB18_44:                              ;   in Loop: Header=BB18_19 Depth=2
	s_waitcnt vmcnt(0) lgkmcnt(0)
	;;#ASMSTART
	v_dot2c_f32_f16 v69, v50, v10
	;;#ASMEND
	;;#ASMSTART
	v_dot2c_f32_f16 v68, v50, v14
	;;#ASMEND
	;;#ASMSTART
	v_dot2c_f32_f16 v67, v50, v18
	;;#ASMEND
	;;#ASMSTART
	v_dot2c_f32_f16 v66, v50, v22
	;;#ASMEND
	;;#ASMSTART
	v_dot2c_f32_f16 v65, v50, v26
	;;#ASMEND
	;;#ASMSTART
	v_dot2c_f32_f16 v64, v50, v30
	;;#ASMEND
	;;#ASMSTART
	v_dot2c_f32_f16 v61, v50, v34
	;;#ASMEND
	s_nop 0
	;;#ASMSTART
	v_dot2c_f32_f16 v69, v51, v11
	;;#ASMEND
	;;#ASMSTART
	v_dot2c_f32_f16 v68, v51, v15
	;;#ASMEND
	;;#ASMSTART
	v_dot2c_f32_f16 v67, v51, v19
	;;#ASMEND
	;;#ASMSTART
	v_dot2c_f32_f16 v66, v51, v23
	;;#ASMEND
	;;#ASMSTART
	v_dot2c_f32_f16 v65, v51, v27
	;;#ASMEND
	;;#ASMSTART
	v_dot2c_f32_f16 v64, v51, v31
	;;#ASMEND
	;;#ASMSTART
	v_dot2c_f32_f16 v61, v51, v35
	;;#ASMEND
	s_nop 0
	;; [unrolled: 22-line block ×3, first 2 shown]
	;;#ASMSTART
	v_dot2c_f32_f16 v69, v53, v13
	;;#ASMEND
	;;#ASMSTART
	v_dot2c_f32_f16 v68, v53, v17
	;;#ASMEND
	;; [unrolled: 3-line block ×7, first 2 shown]
	s_branch .LBB18_18
.LBB18_45:                              ;   in Loop: Header=BB18_16 Depth=1
	v_mov_b32_e32 v55, v59
	v_mov_b32_e32 v89, v59
	v_mov_b32_e32 v88, v59
	v_mov_b32_e32 v87, v59
	v_mov_b32_e32 v86, v59
	v_mov_b32_e32 v85, v59
	v_mov_b32_e32 v84, v59
	v_mov_b32_e32 v83, v59
	v_mov_b32_e32 v82, v59
	v_mov_b32_e32 v81, v59
	v_mov_b32_e32 v80, v59
	v_mov_b32_e32 v79, v59
	v_mov_b32_e32 v78, v59
	v_mov_b32_e32 v77, v59
	v_mov_b32_e32 v76, v59
	v_mov_b32_e32 v75, v59
	v_mov_b32_e32 v74, v59
	v_mov_b32_e32 v73, v59
	v_mov_b32_e32 v72, v59
	v_mov_b32_e32 v71, v59
	v_mov_b32_e32 v70, v59
	v_mov_b32_e32 v69, v59
	v_mov_b32_e32 v68, v59
	v_mov_b32_e32 v67, v59
	v_mov_b32_e32 v66, v59
	v_mov_b32_e32 v65, v59
	v_mov_b32_e32 v64, v59
	v_mov_b32_e32 v61, v59
.LBB18_46:                              ;   in Loop: Header=BB18_16 Depth=1
	;;#ASMSTART
	s_nop 0
	v_add_f32 v55, v55, v55 row_shr:8 bound_ctrl:0 
	;;#ASMEND
	;;#ASMSTART
	s_nop 0
	v_add_f32 v89, v89, v89 row_shr:8 bound_ctrl:0 
	;;#ASMEND
	;; [unrolled: 4-line block ×28, first 2 shown]
	s_nop 0
	;;#ASMSTART
	s_nop 0
	v_add_f32 v55, v55, v55 row_shr:4 bound_ctrl:0 
	;;#ASMEND
	;;#ASMSTART
	s_nop 0
	v_add_f32 v89, v89, v89 row_shr:4 bound_ctrl:0 
	;;#ASMEND
	;; [unrolled: 4-line block ×28, first 2 shown]
	s_nop 0
	;;#ASMSTART
	s_nop 0
	v_add_f32 v55, v55, v55 row_shr:2 bound_ctrl:0 
	;;#ASMEND
	;;#ASMSTART
	s_nop 0
	v_add_f32 v89, v89, v89 row_shr:2 bound_ctrl:0 
	;;#ASMEND
	;; [unrolled: 4-line block ×28, first 2 shown]
	s_nop 0
	;;#ASMSTART
	s_nop 0
	v_add_f32 v55, v55, v55 wave_shr:1 bound_ctrl:0
	;;#ASMEND
	;;#ASMSTART
	s_nop 0
	v_add_f32 v89, v89, v89 wave_shr:1 bound_ctrl:0
	;;#ASMEND
	;; [unrolled: 4-line block ×28, first 2 shown]
	s_nop 0
	;;#ASMSTART
	s_nop 0
	v_add_f32 v55, v55, v55 row_bcast:15 bound_ctrl:0
	;;#ASMEND
	;;#ASMSTART
	s_nop 0
	v_add_f32 v89, v89, v89 row_bcast:15 bound_ctrl:0
	;;#ASMEND
	;; [unrolled: 4-line block ×28, first 2 shown]
	s_nop 0
	;;#ASMSTART
	s_nop 0
	v_add_f32 v55, v55, v55 row_bcast:31 bound_ctrl:0
	;;#ASMEND
	;;#ASMSTART
	s_nop 0
	v_add_f32 v89, v89, v89 row_bcast:31 bound_ctrl:0
	;;#ASMEND
	;; [unrolled: 4-line block ×28, first 2 shown]
	s_and_saveexec_b64 s[30:31], s[0:1]
	s_cbranch_execz .LBB18_76
; %bb.47:                               ;   in Loop: Header=BB18_16 Depth=1
	v_cmp_ne_u32_e32 vcc, 0, v2
	s_and_saveexec_b64 s[4:5], vcc
	s_cbranch_execnz .LBB18_81
; %bb.48:                               ;   in Loop: Header=BB18_16 Depth=1
	s_or_b64 exec, exec, s[4:5]
	v_cmp_ne_u32_e64 s[4:5], 0, v3
	s_and_saveexec_b64 s[6:7], s[4:5]
	s_cbranch_execnz .LBB18_82
.LBB18_49:                              ;   in Loop: Header=BB18_16 Depth=1
	s_or_b64 exec, exec, s[6:7]
	v_cmp_ne_u32_e64 s[6:7], 0, v4
	s_and_saveexec_b64 s[8:9], s[6:7]
	s_cbranch_execnz .LBB18_83
.LBB18_50:                              ;   in Loop: Header=BB18_16 Depth=1
	s_or_b64 exec, exec, s[8:9]
	v_cmp_ne_u32_e64 s[8:9], 0, v5
	s_and_saveexec_b64 s[10:11], s[8:9]
	s_cbranch_execnz .LBB18_84
.LBB18_51:                              ;   in Loop: Header=BB18_16 Depth=1
	s_or_b64 exec, exec, s[10:11]
	v_cmp_ne_u32_e64 s[10:11], 0, v6
	s_and_saveexec_b64 s[12:13], s[10:11]
	s_cbranch_execnz .LBB18_85
.LBB18_52:                              ;   in Loop: Header=BB18_16 Depth=1
	s_or_b64 exec, exec, s[12:13]
	v_cmp_ne_u32_e64 s[12:13], 0, v7
	s_and_saveexec_b64 s[14:15], s[12:13]
	s_cbranch_execnz .LBB18_86
.LBB18_53:                              ;   in Loop: Header=BB18_16 Depth=1
	s_or_b64 exec, exec, s[14:15]
	v_cmp_ne_u32_e64 s[14:15], 0, v8
	s_and_saveexec_b64 s[34:35], s[14:15]
	s_cbranch_execnz .LBB18_87
.LBB18_54:                              ;   in Loop: Header=BB18_16 Depth=1
	s_or_b64 exec, exec, s[34:35]
	v_add_u32_e32 v58, s17, v54
	s_and_saveexec_b64 s[34:35], vcc
	s_cbranch_execnz .LBB18_88
.LBB18_55:                              ;   in Loop: Header=BB18_16 Depth=1
	s_or_b64 exec, exec, s[34:35]
	s_and_saveexec_b64 s[34:35], s[4:5]
	s_cbranch_execnz .LBB18_89
.LBB18_56:                              ;   in Loop: Header=BB18_16 Depth=1
	s_or_b64 exec, exec, s[34:35]
	s_and_saveexec_b64 s[34:35], s[6:7]
	s_cbranch_execnz .LBB18_90
.LBB18_57:                              ;   in Loop: Header=BB18_16 Depth=1
	s_or_b64 exec, exec, s[34:35]
	s_and_saveexec_b64 s[34:35], s[8:9]
	s_cbranch_execnz .LBB18_91
.LBB18_58:                              ;   in Loop: Header=BB18_16 Depth=1
	s_or_b64 exec, exec, s[34:35]
	s_and_saveexec_b64 s[34:35], s[10:11]
	s_cbranch_execnz .LBB18_92
.LBB18_59:                              ;   in Loop: Header=BB18_16 Depth=1
	s_or_b64 exec, exec, s[34:35]
	s_and_saveexec_b64 s[34:35], s[12:13]
	s_cbranch_execnz .LBB18_93
.LBB18_60:                              ;   in Loop: Header=BB18_16 Depth=1
	s_or_b64 exec, exec, s[34:35]
	s_and_saveexec_b64 s[34:35], s[14:15]
	s_cbranch_execnz .LBB18_94
.LBB18_61:                              ;   in Loop: Header=BB18_16 Depth=1
	s_or_b64 exec, exec, s[34:35]
	v_add_u32_e32 v58, s17, v58
	s_and_saveexec_b64 s[34:35], vcc
	s_cbranch_execnz .LBB18_95
.LBB18_62:                              ;   in Loop: Header=BB18_16 Depth=1
	s_or_b64 exec, exec, s[34:35]
	s_and_saveexec_b64 s[34:35], s[4:5]
	s_cbranch_execnz .LBB18_96
.LBB18_63:                              ;   in Loop: Header=BB18_16 Depth=1
	s_or_b64 exec, exec, s[34:35]
	s_and_saveexec_b64 s[34:35], s[6:7]
	s_cbranch_execnz .LBB18_97
.LBB18_64:                              ;   in Loop: Header=BB18_16 Depth=1
	s_or_b64 exec, exec, s[34:35]
	s_and_saveexec_b64 s[34:35], s[8:9]
	s_cbranch_execnz .LBB18_98
.LBB18_65:                              ;   in Loop: Header=BB18_16 Depth=1
	s_or_b64 exec, exec, s[34:35]
	s_and_saveexec_b64 s[34:35], s[10:11]
	s_cbranch_execnz .LBB18_99
.LBB18_66:                              ;   in Loop: Header=BB18_16 Depth=1
	s_or_b64 exec, exec, s[34:35]
	s_and_saveexec_b64 s[34:35], s[12:13]
	s_cbranch_execnz .LBB18_100
.LBB18_67:                              ;   in Loop: Header=BB18_16 Depth=1
	s_or_b64 exec, exec, s[34:35]
	s_and_saveexec_b64 s[34:35], s[14:15]
	s_cbranch_execnz .LBB18_101
.LBB18_68:                              ;   in Loop: Header=BB18_16 Depth=1
	s_or_b64 exec, exec, s[34:35]
	v_add_u32_e32 v58, s17, v58
	s_and_saveexec_b64 s[34:35], vcc
	s_cbranch_execnz .LBB18_102
.LBB18_69:                              ;   in Loop: Header=BB18_16 Depth=1
	s_or_b64 exec, exec, s[34:35]
	s_and_saveexec_b64 s[34:35], s[4:5]
	s_cbranch_execnz .LBB18_103
.LBB18_70:                              ;   in Loop: Header=BB18_16 Depth=1
	s_or_b64 exec, exec, s[34:35]
	s_and_saveexec_b64 s[4:5], s[6:7]
	s_cbranch_execnz .LBB18_104
.LBB18_71:                              ;   in Loop: Header=BB18_16 Depth=1
	s_or_b64 exec, exec, s[4:5]
	s_and_saveexec_b64 s[4:5], s[8:9]
	s_cbranch_execnz .LBB18_105
.LBB18_72:                              ;   in Loop: Header=BB18_16 Depth=1
	s_or_b64 exec, exec, s[4:5]
	s_and_saveexec_b64 s[4:5], s[10:11]
	s_cbranch_execnz .LBB18_106
.LBB18_73:                              ;   in Loop: Header=BB18_16 Depth=1
	s_or_b64 exec, exec, s[4:5]
	s_and_saveexec_b64 s[4:5], s[12:13]
	s_cbranch_execnz .LBB18_107
.LBB18_74:                              ;   in Loop: Header=BB18_16 Depth=1
	s_or_b64 exec, exec, s[4:5]
	s_and_b64 exec, exec, s[14:15]
	s_cbranch_execz .LBB18_76
.LBB18_75:                              ;   in Loop: Header=BB18_16 Depth=1
	v_cvt_f16_f32_e32 v55, v61
	v_add_u32_e32 v58, 6, v58
	s_waitcnt lgkmcnt(0)
	v_lshl_add_u64 v[60:61], v[58:59], 1, s[22:23]
	global_store_short v[60:61], v55, off
.LBB18_76:                              ;   in Loop: Header=BB18_16 Depth=1
	s_or_b64 exec, exec, s[30:31]
	v_add_u32_e32 v54, s36, v54
	v_add_u32_e32 v55, 7, v54
	v_cmp_gt_u32_e32 vcc, s17, v54
	v_cmp_le_u32_e64 s[4:5], s17, v55
	s_and_b64 s[4:5], vcc, s[4:5]
	s_and_saveexec_b64 s[6:7], s[4:5]
	s_cbranch_execz .LBB18_15
; %bb.77:                               ;   in Loop: Header=BB18_16 Depth=1
	v_cmp_ne_u32_e32 vcc, s37, v54
	s_and_saveexec_b64 s[8:9], vcc
	s_cbranch_execz .LBB18_14
; %bb.78:                               ;   in Loop: Header=BB18_16 Depth=1
	v_subrev_u32_e32 v54, s37, v54
	v_cmp_lt_u32_e32 vcc, 1, v54
	s_mov_b64 s[10:11], 0
	s_mov_b64 s[12:13], 0
	v_cndmask_b32_e32 v54, 1, v54, vcc
.LBB18_79:                              ;   Parent Loop BB18_16 Depth=1
                                        ; =>  This Inner Loop Header: Depth=2
	s_cmp_lg_u32 s12, 6
	s_cselect_b64 vcc, -1, 0
	s_cmp_lg_u32 s12, 5
	v_cndmask_b32_e32 v8, 0, v8, vcc
	s_cselect_b64 vcc, -1, 0
	s_cmp_lg_u32 s12, 4
	v_cndmask_b32_e32 v7, 0, v7, vcc
	;; [unrolled: 3-line block ×6, first 2 shown]
	s_cselect_b64 vcc, -1, 0
	s_add_u32 s12, s12, 1
	s_addc_u32 s13, s13, 0
	v_cmp_eq_u32_e64 s[4:5], s12, v54
	s_or_b64 s[10:11], s[4:5], s[10:11]
	v_cndmask_b32_e32 v2, 0, v2, vcc
	s_andn2_b64 exec, exec, s[10:11]
	s_cbranch_execnz .LBB18_79
; %bb.80:                               ;   in Loop: Header=BB18_16 Depth=1
	s_or_b64 exec, exec, s[10:11]
	s_branch .LBB18_14
.LBB18_81:                              ;   in Loop: Header=BB18_16 Depth=1
	v_cvt_f16_f32_e32 v58, v55
	v_mov_b32_e32 v55, v59
	s_waitcnt lgkmcnt(0)
	v_lshl_add_u64 v[62:63], v[54:55], 1, s[22:23]
	global_store_short v[62:63], v58, off
	s_or_b64 exec, exec, s[4:5]
	v_cmp_ne_u32_e64 s[4:5], 0, v3
	s_and_saveexec_b64 s[6:7], s[4:5]
	s_cbranch_execz .LBB18_49
.LBB18_82:                              ;   in Loop: Header=BB18_16 Depth=1
	v_cvt_f16_f32_e32 v55, v89
	v_add_u32_e32 v58, 1, v54
	s_waitcnt lgkmcnt(0)
	v_lshl_add_u64 v[62:63], v[58:59], 1, s[22:23]
	global_store_short v[62:63], v55, off
	s_or_b64 exec, exec, s[6:7]
	v_cmp_ne_u32_e64 s[6:7], 0, v4
	s_and_saveexec_b64 s[8:9], s[6:7]
	s_cbranch_execz .LBB18_50
.LBB18_83:                              ;   in Loop: Header=BB18_16 Depth=1
	v_cvt_f16_f32_e32 v55, v88
	v_add_u32_e32 v58, 2, v54
	s_waitcnt lgkmcnt(0)
	v_lshl_add_u64 v[62:63], v[58:59], 1, s[22:23]
	global_store_short v[62:63], v55, off
	s_or_b64 exec, exec, s[8:9]
	v_cmp_ne_u32_e64 s[8:9], 0, v5
	s_and_saveexec_b64 s[10:11], s[8:9]
	s_cbranch_execz .LBB18_51
.LBB18_84:                              ;   in Loop: Header=BB18_16 Depth=1
	v_cvt_f16_f32_e32 v55, v87
	v_add_u32_e32 v58, 3, v54
	s_waitcnt lgkmcnt(0)
	v_lshl_add_u64 v[62:63], v[58:59], 1, s[22:23]
	global_store_short v[62:63], v55, off
	s_or_b64 exec, exec, s[10:11]
	v_cmp_ne_u32_e64 s[10:11], 0, v6
	s_and_saveexec_b64 s[12:13], s[10:11]
	s_cbranch_execz .LBB18_52
.LBB18_85:                              ;   in Loop: Header=BB18_16 Depth=1
	v_cvt_f16_f32_e32 v55, v86
	v_add_u32_e32 v58, 4, v54
	s_waitcnt lgkmcnt(0)
	v_lshl_add_u64 v[62:63], v[58:59], 1, s[22:23]
	global_store_short v[62:63], v55, off
	s_or_b64 exec, exec, s[12:13]
	v_cmp_ne_u32_e64 s[12:13], 0, v7
	s_and_saveexec_b64 s[14:15], s[12:13]
	s_cbranch_execz .LBB18_53
.LBB18_86:                              ;   in Loop: Header=BB18_16 Depth=1
	v_cvt_f16_f32_e32 v55, v85
	v_add_u32_e32 v58, 5, v54
	s_waitcnt lgkmcnt(0)
	v_lshl_add_u64 v[62:63], v[58:59], 1, s[22:23]
	global_store_short v[62:63], v55, off
	s_or_b64 exec, exec, s[14:15]
	v_cmp_ne_u32_e64 s[14:15], 0, v8
	s_and_saveexec_b64 s[34:35], s[14:15]
	s_cbranch_execz .LBB18_54
.LBB18_87:                              ;   in Loop: Header=BB18_16 Depth=1
	v_cvt_f16_f32_e32 v55, v84
	v_add_u32_e32 v58, 6, v54
	s_waitcnt lgkmcnt(0)
	v_lshl_add_u64 v[62:63], v[58:59], 1, s[22:23]
	global_store_short v[62:63], v55, off
	s_or_b64 exec, exec, s[34:35]
	v_add_u32_e32 v58, s17, v54
	s_and_saveexec_b64 s[34:35], vcc
	s_cbranch_execz .LBB18_55
.LBB18_88:                              ;   in Loop: Header=BB18_16 Depth=1
	v_cvt_f16_f32_e32 v55, v83
	s_waitcnt lgkmcnt(0)
	v_lshl_add_u64 v[62:63], v[58:59], 1, s[22:23]
	global_store_short v[62:63], v55, off
	s_or_b64 exec, exec, s[34:35]
	s_and_saveexec_b64 s[34:35], s[4:5]
	s_cbranch_execz .LBB18_56
.LBB18_89:                              ;   in Loop: Header=BB18_16 Depth=1
	v_cvt_f16_f32_e32 v55, v82
	v_add_u32_e32 v62, 1, v58
	v_mov_b32_e32 v63, v59
	s_waitcnt lgkmcnt(0)
	v_lshl_add_u64 v[62:63], v[62:63], 1, s[22:23]
	global_store_short v[62:63], v55, off
	s_or_b64 exec, exec, s[34:35]
	s_and_saveexec_b64 s[34:35], s[6:7]
	s_cbranch_execz .LBB18_57
.LBB18_90:                              ;   in Loop: Header=BB18_16 Depth=1
	v_cvt_f16_f32_e32 v55, v81
	v_add_u32_e32 v62, 2, v58
	v_mov_b32_e32 v63, v59
	s_waitcnt lgkmcnt(0)
	v_lshl_add_u64 v[62:63], v[62:63], 1, s[22:23]
	global_store_short v[62:63], v55, off
	s_or_b64 exec, exec, s[34:35]
	s_and_saveexec_b64 s[34:35], s[8:9]
	s_cbranch_execz .LBB18_58
.LBB18_91:                              ;   in Loop: Header=BB18_16 Depth=1
	v_cvt_f16_f32_e32 v55, v80
	v_add_u32_e32 v62, 3, v58
	v_mov_b32_e32 v63, v59
	s_waitcnt lgkmcnt(0)
	v_lshl_add_u64 v[62:63], v[62:63], 1, s[22:23]
	global_store_short v[62:63], v55, off
	s_or_b64 exec, exec, s[34:35]
	s_and_saveexec_b64 s[34:35], s[10:11]
	s_cbranch_execz .LBB18_59
.LBB18_92:                              ;   in Loop: Header=BB18_16 Depth=1
	v_cvt_f16_f32_e32 v55, v79
	v_add_u32_e32 v62, 4, v58
	v_mov_b32_e32 v63, v59
	s_waitcnt lgkmcnt(0)
	v_lshl_add_u64 v[62:63], v[62:63], 1, s[22:23]
	global_store_short v[62:63], v55, off
	s_or_b64 exec, exec, s[34:35]
	s_and_saveexec_b64 s[34:35], s[12:13]
	s_cbranch_execz .LBB18_60
.LBB18_93:                              ;   in Loop: Header=BB18_16 Depth=1
	v_cvt_f16_f32_e32 v55, v78
	v_add_u32_e32 v62, 5, v58
	v_mov_b32_e32 v63, v59
	s_waitcnt lgkmcnt(0)
	v_lshl_add_u64 v[62:63], v[62:63], 1, s[22:23]
	global_store_short v[62:63], v55, off
	s_or_b64 exec, exec, s[34:35]
	s_and_saveexec_b64 s[34:35], s[14:15]
	s_cbranch_execz .LBB18_61
.LBB18_94:                              ;   in Loop: Header=BB18_16 Depth=1
	v_cvt_f16_f32_e32 v55, v77
	v_add_u32_e32 v62, 6, v58
	v_mov_b32_e32 v63, v59
	s_waitcnt lgkmcnt(0)
	v_lshl_add_u64 v[62:63], v[62:63], 1, s[22:23]
	global_store_short v[62:63], v55, off
	s_or_b64 exec, exec, s[34:35]
	v_add_u32_e32 v58, s17, v58
	s_and_saveexec_b64 s[34:35], vcc
	s_cbranch_execz .LBB18_62
.LBB18_95:                              ;   in Loop: Header=BB18_16 Depth=1
	v_cvt_f16_f32_e32 v55, v76
	s_waitcnt lgkmcnt(0)
	v_lshl_add_u64 v[62:63], v[58:59], 1, s[22:23]
	global_store_short v[62:63], v55, off
	s_or_b64 exec, exec, s[34:35]
	s_and_saveexec_b64 s[34:35], s[4:5]
	s_cbranch_execz .LBB18_63
.LBB18_96:                              ;   in Loop: Header=BB18_16 Depth=1
	v_cvt_f16_f32_e32 v55, v75
	v_add_u32_e32 v62, 1, v58
	v_mov_b32_e32 v63, v59
	s_waitcnt lgkmcnt(0)
	v_lshl_add_u64 v[62:63], v[62:63], 1, s[22:23]
	global_store_short v[62:63], v55, off
	s_or_b64 exec, exec, s[34:35]
	s_and_saveexec_b64 s[34:35], s[6:7]
	s_cbranch_execz .LBB18_64
.LBB18_97:                              ;   in Loop: Header=BB18_16 Depth=1
	v_cvt_f16_f32_e32 v55, v74
	v_add_u32_e32 v62, 2, v58
	v_mov_b32_e32 v63, v59
	s_waitcnt lgkmcnt(0)
	v_lshl_add_u64 v[62:63], v[62:63], 1, s[22:23]
	global_store_short v[62:63], v55, off
	s_or_b64 exec, exec, s[34:35]
	s_and_saveexec_b64 s[34:35], s[8:9]
	s_cbranch_execz .LBB18_65
.LBB18_98:                              ;   in Loop: Header=BB18_16 Depth=1
	v_cvt_f16_f32_e32 v55, v73
	v_add_u32_e32 v62, 3, v58
	v_mov_b32_e32 v63, v59
	s_waitcnt lgkmcnt(0)
	v_lshl_add_u64 v[62:63], v[62:63], 1, s[22:23]
	global_store_short v[62:63], v55, off
	s_or_b64 exec, exec, s[34:35]
	s_and_saveexec_b64 s[34:35], s[10:11]
	s_cbranch_execz .LBB18_66
.LBB18_99:                              ;   in Loop: Header=BB18_16 Depth=1
	v_cvt_f16_f32_e32 v55, v72
	v_add_u32_e32 v62, 4, v58
	v_mov_b32_e32 v63, v59
	s_waitcnt lgkmcnt(0)
	v_lshl_add_u64 v[62:63], v[62:63], 1, s[22:23]
	global_store_short v[62:63], v55, off
	s_or_b64 exec, exec, s[34:35]
	s_and_saveexec_b64 s[34:35], s[12:13]
	s_cbranch_execz .LBB18_67
.LBB18_100:                             ;   in Loop: Header=BB18_16 Depth=1
	v_cvt_f16_f32_e32 v55, v71
	v_add_u32_e32 v62, 5, v58
	v_mov_b32_e32 v63, v59
	s_waitcnt lgkmcnt(0)
	v_lshl_add_u64 v[62:63], v[62:63], 1, s[22:23]
	global_store_short v[62:63], v55, off
	s_or_b64 exec, exec, s[34:35]
	s_and_saveexec_b64 s[34:35], s[14:15]
	s_cbranch_execz .LBB18_68
.LBB18_101:                             ;   in Loop: Header=BB18_16 Depth=1
	v_cvt_f16_f32_e32 v55, v70
	v_add_u32_e32 v62, 6, v58
	v_mov_b32_e32 v63, v59
	s_waitcnt lgkmcnt(0)
	v_lshl_add_u64 v[62:63], v[62:63], 1, s[22:23]
	global_store_short v[62:63], v55, off
	s_or_b64 exec, exec, s[34:35]
	v_add_u32_e32 v58, s17, v58
	s_and_saveexec_b64 s[34:35], vcc
	s_cbranch_execz .LBB18_69
.LBB18_102:                             ;   in Loop: Header=BB18_16 Depth=1
	v_cvt_f16_f32_e32 v55, v69
	s_waitcnt lgkmcnt(0)
	v_lshl_add_u64 v[62:63], v[58:59], 1, s[22:23]
	global_store_short v[62:63], v55, off
	s_or_b64 exec, exec, s[34:35]
	s_and_saveexec_b64 s[34:35], s[4:5]
	s_cbranch_execz .LBB18_70
.LBB18_103:                             ;   in Loop: Header=BB18_16 Depth=1
	v_cvt_f16_f32_e32 v55, v68
	v_add_u32_e32 v62, 1, v58
	v_mov_b32_e32 v63, v59
	s_waitcnt lgkmcnt(0)
	v_lshl_add_u64 v[62:63], v[62:63], 1, s[22:23]
	global_store_short v[62:63], v55, off
	s_or_b64 exec, exec, s[34:35]
	s_and_saveexec_b64 s[4:5], s[6:7]
	s_cbranch_execz .LBB18_71
.LBB18_104:                             ;   in Loop: Header=BB18_16 Depth=1
	v_cvt_f16_f32_e32 v55, v67
	v_add_u32_e32 v62, 2, v58
	v_mov_b32_e32 v63, v59
	s_waitcnt lgkmcnt(0)
	v_lshl_add_u64 v[62:63], v[62:63], 1, s[22:23]
	global_store_short v[62:63], v55, off
	s_or_b64 exec, exec, s[4:5]
	s_and_saveexec_b64 s[4:5], s[8:9]
	s_cbranch_execz .LBB18_72
.LBB18_105:                             ;   in Loop: Header=BB18_16 Depth=1
	v_cvt_f16_f32_e32 v55, v66
	v_add_u32_e32 v62, 3, v58
	v_mov_b32_e32 v63, v59
	s_waitcnt lgkmcnt(0)
	v_lshl_add_u64 v[62:63], v[62:63], 1, s[22:23]
	global_store_short v[62:63], v55, off
	s_or_b64 exec, exec, s[4:5]
	s_and_saveexec_b64 s[4:5], s[10:11]
	s_cbranch_execz .LBB18_73
.LBB18_106:                             ;   in Loop: Header=BB18_16 Depth=1
	v_cvt_f16_f32_e32 v55, v65
	v_add_u32_e32 v62, 4, v58
	v_mov_b32_e32 v63, v59
	s_waitcnt lgkmcnt(0)
	v_lshl_add_u64 v[62:63], v[62:63], 1, s[22:23]
	global_store_short v[62:63], v55, off
	s_or_b64 exec, exec, s[4:5]
	s_and_saveexec_b64 s[4:5], s[12:13]
	s_cbranch_execz .LBB18_74
.LBB18_107:                             ;   in Loop: Header=BB18_16 Depth=1
	v_cvt_f16_f32_e32 v55, v64
	v_add_u32_e32 v62, 5, v58
	v_mov_b32_e32 v63, v59
	s_waitcnt lgkmcnt(0)
	v_lshl_add_u64 v[62:63], v[62:63], 1, s[22:23]
	global_store_short v[62:63], v55, off
	s_or_b64 exec, exec, s[4:5]
	s_and_b64 exec, exec, s[14:15]
	s_cbranch_execnz .LBB18_75
	s_branch .LBB18_76
.LBB18_108:
	s_endpgm
	.section	.rodata,"a",@progbits
	.p2align	6, 0x0
	.amdhsa_kernel _Z12wvSplitK_hf_I6__halfLi64ELi7ELi16ELi8ELi1ELi4EEviiPKT_S3_PS1_ii
		.amdhsa_group_segment_fixed_size 65536
		.amdhsa_private_segment_fixed_size 0
		.amdhsa_kernarg_size 40
		.amdhsa_user_sgpr_count 2
		.amdhsa_user_sgpr_dispatch_ptr 0
		.amdhsa_user_sgpr_queue_ptr 0
		.amdhsa_user_sgpr_kernarg_segment_ptr 1
		.amdhsa_user_sgpr_dispatch_id 0
		.amdhsa_user_sgpr_kernarg_preload_length 0
		.amdhsa_user_sgpr_kernarg_preload_offset 0
		.amdhsa_user_sgpr_private_segment_size 0
		.amdhsa_uses_dynamic_stack 0
		.amdhsa_enable_private_segment 0
		.amdhsa_system_sgpr_workgroup_id_x 1
		.amdhsa_system_sgpr_workgroup_id_y 0
		.amdhsa_system_sgpr_workgroup_id_z 0
		.amdhsa_system_sgpr_workgroup_info 0
		.amdhsa_system_vgpr_workitem_id 1
		.amdhsa_next_free_vgpr 91
		.amdhsa_next_free_sgpr 41
		.amdhsa_accum_offset 92
		.amdhsa_reserve_vcc 1
		.amdhsa_float_round_mode_32 0
		.amdhsa_float_round_mode_16_64 0
		.amdhsa_float_denorm_mode_32 3
		.amdhsa_float_denorm_mode_16_64 3
		.amdhsa_dx10_clamp 1
		.amdhsa_ieee_mode 1
		.amdhsa_fp16_overflow 0
		.amdhsa_tg_split 0
		.amdhsa_exception_fp_ieee_invalid_op 0
		.amdhsa_exception_fp_denorm_src 0
		.amdhsa_exception_fp_ieee_div_zero 0
		.amdhsa_exception_fp_ieee_overflow 0
		.amdhsa_exception_fp_ieee_underflow 0
		.amdhsa_exception_fp_ieee_inexact 0
		.amdhsa_exception_int_div_zero 0
	.end_amdhsa_kernel
	.section	.text._Z12wvSplitK_hf_I6__halfLi64ELi7ELi16ELi8ELi1ELi4EEviiPKT_S3_PS1_ii,"axG",@progbits,_Z12wvSplitK_hf_I6__halfLi64ELi7ELi16ELi8ELi1ELi4EEviiPKT_S3_PS1_ii,comdat
.Lfunc_end18:
	.size	_Z12wvSplitK_hf_I6__halfLi64ELi7ELi16ELi8ELi1ELi4EEviiPKT_S3_PS1_ii, .Lfunc_end18-_Z12wvSplitK_hf_I6__halfLi64ELi7ELi16ELi8ELi1ELi4EEviiPKT_S3_PS1_ii
                                        ; -- End function
	.section	.AMDGPU.csdata,"",@progbits
; Kernel info:
; codeLenInByte = 7000
; NumSgprs: 47
; NumVgprs: 91
; NumAgprs: 0
; TotalNumVgprs: 91
; ScratchSize: 0
; MemoryBound: 1
; FloatMode: 240
; IeeeMode: 1
; LDSByteSize: 65536 bytes/workgroup (compile time only)
; SGPRBlocks: 5
; VGPRBlocks: 11
; NumSGPRsForWavesPerEU: 47
; NumVGPRsForWavesPerEU: 91
; AccumOffset: 92
; Occupancy: 4
; WaveLimiterHint : 0
; COMPUTE_PGM_RSRC2:SCRATCH_EN: 0
; COMPUTE_PGM_RSRC2:USER_SGPR: 2
; COMPUTE_PGM_RSRC2:TRAP_HANDLER: 0
; COMPUTE_PGM_RSRC2:TGID_X_EN: 1
; COMPUTE_PGM_RSRC2:TGID_Y_EN: 0
; COMPUTE_PGM_RSRC2:TGID_Z_EN: 0
; COMPUTE_PGM_RSRC2:TIDIG_COMP_CNT: 1
; COMPUTE_PGM_RSRC3_GFX90A:ACCUM_OFFSET: 22
; COMPUTE_PGM_RSRC3_GFX90A:TG_SPLIT: 0
	.section	.text._Z16wvSplitK_hf_big_I6__halfLi64ELi7ELi16ELi8ELi1ELi4EEviiPKT_S3_PS1_ii,"axG",@progbits,_Z16wvSplitK_hf_big_I6__halfLi64ELi7ELi16ELi8ELi1ELi4EEviiPKT_S3_PS1_ii,comdat
	.protected	_Z16wvSplitK_hf_big_I6__halfLi64ELi7ELi16ELi8ELi1ELi4EEviiPKT_S3_PS1_ii ; -- Begin function _Z16wvSplitK_hf_big_I6__halfLi64ELi7ELi16ELi8ELi1ELi4EEviiPKT_S3_PS1_ii
	.globl	_Z16wvSplitK_hf_big_I6__halfLi64ELi7ELi16ELi8ELi1ELi4EEviiPKT_S3_PS1_ii
	.p2align	8
	.type	_Z16wvSplitK_hf_big_I6__halfLi64ELi7ELi16ELi8ELi1ELi4EEviiPKT_S3_PS1_ii,@function
_Z16wvSplitK_hf_big_I6__halfLi64ELi7ELi16ELi8ELi1ELi4EEviiPKT_S3_PS1_ii: ; @_Z16wvSplitK_hf_big_I6__halfLi64ELi7ELi16ELi8ELi1ELi4EEviiPKT_S3_PS1_ii
; %bb.0:
	s_load_dwordx2 s[12:13], s[0:1], 0x20
	v_bfe_u32 v11, v0, 10, 10
	s_waitcnt lgkmcnt(0)
	v_cmp_gt_u32_e32 vcc, s12, v11
	s_and_saveexec_b64 s[4:5], vcc
	s_cbranch_execz .LBB19_92
; %bb.1:
	s_load_dwordx2 s[18:19], s[0:1], 0x0
	s_mul_i32 s2, s2, s12
	v_add_u32_e32 v1, s2, v11
	v_mul_lo_u32 v54, v1, 7
	v_add_u32_e32 v1, 7, v54
	s_mov_b32 s4, 1
	s_waitcnt lgkmcnt(0)
	v_cmp_gt_u32_e32 vcc, s19, v54
	v_cmp_le_u32_e64 s[2:3], s19, v1
	s_mov_b32 s5, s4
	s_mov_b32 s6, s4
	;; [unrolled: 1-line block ×6, first 2 shown]
	v_mov_b32_e32 v2, s4
	s_and_b64 s[14:15], vcc, s[2:3]
	v_mov_b32_e32 v3, s5
	v_mov_b32_e32 v4, s6
	;; [unrolled: 1-line block ×6, first 2 shown]
	s_and_saveexec_b64 s[2:3], s[14:15]
	s_cbranch_execz .LBB19_7
; %bb.2:
	s_add_i32 s11, s19, -7
	v_mov_b32_e32 v2, s4
	v_cmp_ne_u32_e32 vcc, s11, v54
	v_mov_b32_e32 v3, s5
	v_mov_b32_e32 v4, s6
	;; [unrolled: 1-line block ×6, first 2 shown]
	s_and_saveexec_b64 s[14:15], vcc
	s_cbranch_execz .LBB19_6
; %bb.3:
	v_subrev_u32_e32 v1, s11, v54
	v_cmp_lt_u32_e32 vcc, 1, v1
	s_mov_b64 s[16:17], 0
	s_mov_b64 s[20:21], 0
	v_cndmask_b32_e32 v10, 1, v1, vcc
	s_mov_b32 s5, s4
	s_mov_b32 s6, s4
	s_mov_b32 s7, s4
	s_mov_b32 s8, s4
	s_mov_b32 s9, s4
	s_mov_b32 s10, s4
.LBB19_4:                               ; =>This Inner Loop Header: Depth=1
	s_cmp_lg_u32 s20, 6
	s_cselect_b32 s10, s10, 0
	s_cmp_lg_u32 s20, 5
	s_cselect_b32 s9, s9, 0
	;; [unrolled: 2-line block ×7, first 2 shown]
	s_add_u32 s20, s20, 1
	s_addc_u32 s21, s21, 0
	v_cmp_eq_u32_e32 vcc, s20, v10
	v_mov_b32_e32 v2, s4
	s_or_b64 s[16:17], vcc, s[16:17]
	v_mov_b32_e32 v3, s5
	v_mov_b32_e32 v4, s6
	v_mov_b32_e32 v5, s7
	v_mov_b32_e32 v6, s8
	v_mov_b32_e32 v7, s9
	v_mov_b32_e32 v8, s10
	s_andn2_b64 exec, exec, s[16:17]
	s_cbranch_execnz .LBB19_4
; %bb.5:
	s_or_b64 exec, exec, s[16:17]
	v_mov_b32_e32 v54, s11
.LBB19_6:
	s_or_b64 exec, exec, s[14:15]
.LBB19_7:
	s_or_b64 exec, exec, s[2:3]
	s_mul_i32 s44, s12, 7
	s_abs_i32 s2, s44
	v_cvt_f32_u32_e32 v1, s2
	s_sub_i32 s5, 0, s2
	s_abs_i32 s4, s19
	s_ashr_i32 s3, s19, 31
	v_rcp_iflag_f32_e32 v1, v1
	s_nop 0
	v_mul_f32_e32 v1, 0x4f7ffffe, v1
	v_cvt_u32_f32_e32 v1, v1
	s_nop 0
	v_readfirstlane_b32 s6, v1
	s_mul_i32 s5, s5, s6
	s_mul_hi_u32 s5, s6, s5
	s_add_i32 s6, s6, s5
	s_mul_hi_u32 s5, s4, s6
	s_mul_i32 s5, s5, s2
	s_sub_i32 s4, s4, s5
	s_sub_i32 s5, s4, s2
	s_cmp_ge_u32 s4, s2
	s_cselect_b32 s4, s5, s4
	s_sub_i32 s5, s4, s2
	s_cmp_ge_u32 s4, s2
	s_cselect_b32 s2, s5, s4
	s_xor_b32 s2, s2, s3
	s_sub_i32 s2, s2, s3
	s_add_i32 s3, s44, s19
	s_sub_i32 s3, s3, s2
	s_cmp_eq_u32 s2, 0
	s_cselect_b32 s33, s19, s3
	v_cmp_gt_u32_e32 vcc, s33, v54
	s_and_b64 exec, exec, vcc
	s_cbranch_execz .LBB19_92
; %bb.8:
	s_mov_b32 s2, 0
	s_load_dwordx4 s[20:23], s[0:1], 0x8
	s_load_dwordx2 s[24:25], s[0:1], 0x18
	v_cvt_f64_i32_e32 v[12:13], s18
	s_mov_b32 s3, 0x40c00000
	v_min_f64 v[12:13], v[12:13], s[2:3]
	s_cmp_lg_u32 s18, 0
	v_and_b32_e32 v0, 0x3ff, v0
	v_cvt_u32_f64_e32 v10, v[12:13]
	v_lshlrev_b32_e32 v1, 3, v0
	s_cselect_b64 s[2:3], -1, 0
	v_cmp_eq_u32_e64 s[0:1], 63, v0
	s_ashr_i32 s27, s18, 31
	s_mov_b32 s26, s18
	v_lshlrev_b32_e32 v0, 4, v0
	s_lshl_b32 s43, s12, 9
	s_add_i32 s45, s19, -7
	s_lshl_b64 s[28:29], s[26:27], 1
	v_lshl_add_u32 v60, v11, 10, v0
	v_lshl_add_u32 v0, v11, 9, v1
	v_cmp_ne_u32_e32 vcc, 0, v10
	v_readfirstlane_b32 s42, v10
	s_waitcnt lgkmcnt(0)
	s_add_u32 s30, s24, 2
	v_mul_lo_u32 v9, v10, 6
	v_lshlrev_b32_e32 v61, 2, v10
	v_lshlrev_b32_e32 v62, 1, v10
	v_mad_u64_u32 v[56:57], s[4:5], s18, 3, v[0:1]
	v_cndmask_b32_e64 v11, 0, 1, s[2:3]
	v_cndmask_b32_e64 v10, 0, 1, vcc
	s_mul_i32 s44, s44, s13
	s_addc_u32 s31, s25, 0
	s_lshl_b32 s46, s12, 10
	v_lshl_add_u32 v63, s18, 1, v0
	v_add_u32_e32 v57, s18, v0
	s_mov_b64 s[34:35], 0
	v_cmp_ne_u32_e64 s[2:3], 1, v11
	v_cmp_ne_u32_e64 s[4:5], 1, v10
	v_mov_b32_e32 v59, 0
	s_lshl_b32 s47, s42, 1
	s_branch .LBB19_12
.LBB19_9:                               ;   in Loop: Header=BB19_12 Depth=1
	s_or_b64 exec, exec, s[10:11]
	v_mov_b32_e32 v54, s45
.LBB19_10:                              ;   in Loop: Header=BB19_12 Depth=1
	s_or_b64 exec, exec, s[8:9]
.LBB19_11:                              ;   in Loop: Header=BB19_12 Depth=1
	s_or_b64 exec, exec, s[36:37]
	v_cmp_le_u32_e32 vcc, s33, v54
	s_or_b64 s[34:35], vcc, s[34:35]
	s_andn2_b64 exec, exec, s[34:35]
	s_cbranch_execz .LBB19_92
.LBB19_12:                              ; =>This Loop Header: Depth=1
                                        ;     Child Loop BB19_16 Depth 2
                                        ;       Child Loop BB19_21 Depth 3
                                        ;     Child Loop BB19_63 Depth 2
	s_mov_b32 s14, 0
	s_and_b64 vcc, exec, s[2:3]
	v_mov_b32_e32 v64, v59
	v_mov_b32_e32 v65, v59
	v_mov_b32_e32 v66, v59
	v_mov_b32_e32 v67, v59
	v_mov_b32_e32 v68, v59
	v_mov_b32_e32 v69, v59
	v_mov_b32_e32 v70, v59
	v_mov_b32_e32 v71, v59
	v_mov_b32_e32 v72, v59
	v_mov_b32_e32 v73, v59
	v_mov_b32_e32 v74, v59
	v_mov_b32_e32 v75, v59
	v_mov_b32_e32 v76, v59
	v_mov_b32_e32 v77, v59
	v_mov_b32_e32 v78, v59
	v_mov_b32_e32 v79, v59
	v_mov_b32_e32 v80, v59
	v_mov_b32_e32 v81, v59
	v_mov_b32_e32 v82, v59
	v_mov_b32_e32 v83, v59
	v_mov_b32_e32 v84, v59
	v_mov_b32_e32 v85, v59
	v_mov_b32_e32 v86, v59
	v_mov_b32_e32 v55, v59
	v_mov_b32_e32 v90, v59
	v_mov_b32_e32 v89, v59
	v_mov_b32_e32 v88, v59
	v_mov_b32_e32 v87, v59
	s_cbranch_vccnz .LBB19_27
; %bb.13:                               ;   in Loop: Header=BB19_12 Depth=1
	v_cmp_gt_u32_e64 s[6:7], s19, v54
	v_mul_lo_u32 v91, v54, s18
	v_mov_b32_e32 v87, 0
	v_mov_b32_e32 v88, 0
	;; [unrolled: 1-line block ×28, first 2 shown]
	s_mov_b32 s15, 0
	s_branch .LBB19_16
.LBB19_14:                              ;   in Loop: Header=BB19_16 Depth=2
	s_or_b64 exec, exec, s[10:11]
.LBB19_15:                              ;   in Loop: Header=BB19_16 Depth=2
	s_or_b64 exec, exec, s[8:9]
	s_addk_i32 s15, 0x200
	s_cmp_ge_u32 s15, s18
	s_cbranch_scc1 .LBB19_27
.LBB19_16:                              ;   Parent Loop BB19_12 Depth=1
                                        ; =>  This Loop Header: Depth=2
                                        ;       Child Loop BB19_21 Depth 3
	s_cmp_eq_u32 s15, 0
	s_cselect_b64 s[8:9], -1, 0
	s_add_i32 s10, s14, s42
	s_cmp_eq_u32 s15, s10
	s_cselect_b64 s[12:13], -1, 0
	s_or_b64 s[12:13], s[8:9], s[12:13]
	s_andn2_b64 vcc, exec, s[12:13]
	s_cbranch_vccz .LBB19_18
; %bb.17:                               ;   in Loop: Header=BB19_16 Depth=2
	s_and_saveexec_b64 s[8:9], s[6:7]
	s_cbranch_execz .LBB19_15
	s_branch .LBB19_25
.LBB19_18:                              ;   in Loop: Header=BB19_16 Depth=2
	s_and_b64 s[8:9], s[8:9], exec
	s_cselect_b32 s14, s14, s10
	s_and_b64 vcc, exec, s[4:5]
	s_barrier
	s_cbranch_vccnz .LBB19_24
; %bb.19:                               ;   in Loop: Header=BB19_16 Depth=2
	v_add_u32_e32 v10, s14, v63
	v_add_u32_e32 v11, s14, v56
	;; [unrolled: 1-line block ×4, first 2 shown]
	s_mov_b32 s16, 0
	s_mov_b64 s[10:11], 0
	v_mov_b32_e32 v14, v60
                                        ; implicit-def: $sgpr12_sgpr13
	s_branch .LBB19_21
.LBB19_20:                              ;   in Loop: Header=BB19_21 Depth=3
	s_or_b64 exec, exec, s[8:9]
	s_and_b64 s[8:9], exec, s[12:13]
	s_or_b64 s[10:11], s[8:9], s[10:11]
	s_andn2_b64 exec, exec, s[10:11]
	s_cbranch_execz .LBB19_23
.LBB19_21:                              ;   Parent Loop BB19_12 Depth=1
                                        ;     Parent Loop BB19_16 Depth=2
                                        ; =>    This Inner Loop Header: Depth=3
	v_add_u32_e32 v15, s16, v0
	v_add_u32_e32 v58, s16, v13
	v_cmp_gt_u32_e32 vcc, s18, v58
	v_cmp_gt_u32_e64 s[8:9], s42, v15
	s_and_b64 s[36:37], vcc, s[8:9]
	s_or_b64 s[12:13], s[12:13], exec
	s_and_saveexec_b64 s[8:9], s[36:37]
	s_cbranch_execz .LBB19_20
; %bb.22:                               ;   in Loop: Header=BB19_21 Depth=3
	v_lshl_add_u64 v[24:25], v[58:59], 1, s[22:23]
	v_add_u32_e32 v58, s16, v12
	v_lshl_add_u64 v[26:27], v[58:59], 1, s[22:23]
	v_add_u32_e32 v58, s16, v10
	global_load_dwordx4 v[16:19], v[24:25], off
	global_load_dwordx4 v[20:23], v[26:27], off
	v_lshl_add_u64 v[24:25], v[58:59], 1, s[22:23]
	v_add_u32_e32 v58, s16, v11
	global_load_dwordx4 v[24:27], v[24:25], off
	v_lshl_add_u64 v[28:29], v[58:59], 1, s[22:23]
	global_load_dwordx4 v[28:31], v[28:29], off
	s_add_i32 s16, s16, s43
	s_cmp_ge_u32 s16, s42
	s_cselect_b64 s[36:37], -1, 0
	s_andn2_b64 s[12:13], s[12:13], exec
	s_and_b64 s[36:37], s[36:37], exec
	v_add_u32_e32 v15, v14, v62
	v_add_u32_e32 v32, v14, v61
	v_add_u32_e32 v33, v14, v9
	s_or_b64 s[12:13], s[12:13], s[36:37]
	s_waitcnt vmcnt(3)
	ds_write_b128 v14, v[16:19]
	v_add_u32_e32 v14, s46, v14
	s_waitcnt vmcnt(2)
	ds_write2_b64 v15, v[20:21], v[22:23] offset1:1
	s_waitcnt vmcnt(1)
	ds_write2_b32 v32, v24, v25 offset1:1
	ds_write2_b32 v32, v26, v27 offset0:2 offset1:3
	s_waitcnt vmcnt(0)
	ds_write2_b64 v33, v[28:29], v[30:31] offset1:1
	s_branch .LBB19_20
.LBB19_23:                              ;   in Loop: Header=BB19_16 Depth=2
	s_or_b64 exec, exec, s[10:11]
.LBB19_24:                              ;   in Loop: Header=BB19_16 Depth=2
	s_waitcnt lgkmcnt(0)
	s_barrier
	s_and_saveexec_b64 s[8:9], s[6:7]
	s_cbranch_execz .LBB19_15
.LBB19_25:                              ;   in Loop: Header=BB19_16 Depth=2
	v_add_u32_e32 v22, s15, v1
	v_cmp_gt_u32_e32 vcc, s18, v22
	s_and_saveexec_b64 s[10:11], vcc
	s_cbranch_execz .LBB19_14
; %bb.26:                               ;   in Loop: Header=BB19_16 Depth=2
	v_add_u32_e32 v58, v22, v91
	v_lshl_add_u64 v[10:11], v[58:59], 1, s[20:21]
	global_load_dwordx4 v[38:41], v[10:11], off nt
	v_lshl_add_u64 v[10:11], s[26:27], 1, v[10:11]
	global_load_dwordx4 v[34:37], v[10:11], off nt
	;; [unrolled: 2-line block ×5, first 2 shown]
	v_lshl_add_u64 v[10:11], v[10:11], 0, s[28:29]
	v_subrev_u32_e32 v22, s14, v22
	global_load_dwordx4 v[14:17], v[10:11], off nt
	v_lshl_add_u64 v[10:11], v[10:11], 0, s[28:29]
	v_lshlrev_b32_e32 v22, 1, v22
	global_load_dwordx4 v[10:13], v[10:11], off nt
	v_add_u32_e32 v23, s47, v22
	ds_read_b128 v[46:49], v22
	ds_read_b128 v[50:53], v23
	v_add_u32_e32 v22, s47, v23
	ds_read_b128 v[42:45], v22
	v_add_u32_e32 v22, s47, v22
	ds_read_b128 v[22:25], v22
	s_waitcnt vmcnt(6) lgkmcnt(3)
	;;#ASMSTART
	v_dot2c_f32_f16 v55, v46, v38
	;;#ASMEND
	s_waitcnt lgkmcnt(2)
	;;#ASMSTART
	v_dot2c_f32_f16 v84, v50, v38
	;;#ASMEND
	s_waitcnt lgkmcnt(1)
	;;#ASMSTART
	v_dot2c_f32_f16 v77, v42, v38
	;;#ASMEND
	s_waitcnt vmcnt(5)
	;;#ASMSTART
	v_dot2c_f32_f16 v90, v46, v34
	;;#ASMEND
	;;#ASMSTART
	v_dot2c_f32_f16 v83, v50, v34
	;;#ASMEND
	;;#ASMSTART
	v_dot2c_f32_f16 v76, v42, v34
	;;#ASMEND
	s_waitcnt vmcnt(4)
	;;#ASMSTART
	v_dot2c_f32_f16 v89, v46, v30
	;;#ASMEND
	;;#ASMSTART
	v_dot2c_f32_f16 v82, v50, v30
	;;#ASMEND
	;; [unrolled: 10-line block ×3, first 2 shown]
	s_waitcnt vmcnt(2)
	;;#ASMSTART
	v_dot2c_f32_f16 v87, v46, v18
	;;#ASMEND
	;;#ASMSTART
	v_dot2c_f32_f16 v80, v50, v18
	;;#ASMEND
	s_waitcnt vmcnt(1)
	;;#ASMSTART
	v_dot2c_f32_f16 v86, v46, v14
	;;#ASMEND
	;;#ASMSTART
	v_dot2c_f32_f16 v79, v50, v14
	;;#ASMEND
	;; [unrolled: 7-line block ×3, first 2 shown]
	;;#ASMSTART
	v_dot2c_f32_f16 v74, v42, v26
	;;#ASMEND
	;;#ASMSTART
	v_dot2c_f32_f16 v73, v42, v18
	;;#ASMEND
	;; [unrolled: 3-line block ×4, first 2 shown]
	s_waitcnt lgkmcnt(0)
	;;#ASMSTART
	v_dot2c_f32_f16 v70, v22, v38
	;;#ASMEND
	;;#ASMSTART
	v_dot2c_f32_f16 v69, v22, v34
	;;#ASMEND
	;;#ASMSTART
	v_dot2c_f32_f16 v68, v22, v30
	;;#ASMEND
	;;#ASMSTART
	v_dot2c_f32_f16 v67, v22, v26
	;;#ASMEND
	;;#ASMSTART
	v_dot2c_f32_f16 v66, v22, v18
	;;#ASMEND
	;;#ASMSTART
	v_dot2c_f32_f16 v65, v22, v14
	;;#ASMEND
	;;#ASMSTART
	v_dot2c_f32_f16 v64, v22, v10
	;;#ASMEND
	;;#ASMSTART
	v_dot2c_f32_f16 v55, v47, v39
	;;#ASMEND
	;;#ASMSTART
	v_dot2c_f32_f16 v84, v51, v39
	;;#ASMEND
	;;#ASMSTART
	v_dot2c_f32_f16 v77, v43, v39
	;;#ASMEND
	;;#ASMSTART
	v_dot2c_f32_f16 v90, v47, v35
	;;#ASMEND
	;;#ASMSTART
	v_dot2c_f32_f16 v83, v51, v35
	;;#ASMEND
	;;#ASMSTART
	v_dot2c_f32_f16 v76, v43, v35
	;;#ASMEND
	;;#ASMSTART
	v_dot2c_f32_f16 v89, v47, v31
	;;#ASMEND
	;;#ASMSTART
	v_dot2c_f32_f16 v82, v51, v31
	;;#ASMEND
	;;#ASMSTART
	v_dot2c_f32_f16 v75, v43, v31
	;;#ASMEND
	;;#ASMSTART
	v_dot2c_f32_f16 v88, v47, v27
	;;#ASMEND
	;;#ASMSTART
	v_dot2c_f32_f16 v81, v51, v27
	;;#ASMEND
	;;#ASMSTART
	v_dot2c_f32_f16 v87, v47, v19
	;;#ASMEND
	;;#ASMSTART
	v_dot2c_f32_f16 v80, v51, v19
	;;#ASMEND
	;;#ASMSTART
	v_dot2c_f32_f16 v86, v47, v15
	;;#ASMEND
	;;#ASMSTART
	v_dot2c_f32_f16 v79, v51, v15
	;;#ASMEND
	;;#ASMSTART
	v_dot2c_f32_f16 v85, v47, v11
	;;#ASMEND
	;;#ASMSTART
	v_dot2c_f32_f16 v78, v51, v11
	;;#ASMEND
	;;#ASMSTART
	v_dot2c_f32_f16 v74, v43, v27
	;;#ASMEND
	;;#ASMSTART
	v_dot2c_f32_f16 v73, v43, v19
	;;#ASMEND
	;;#ASMSTART
	v_dot2c_f32_f16 v72, v43, v15
	;;#ASMEND
	;;#ASMSTART
	v_dot2c_f32_f16 v71, v43, v11
	;;#ASMEND
	s_nop 0
	;;#ASMSTART
	v_dot2c_f32_f16 v70, v23, v39
	;;#ASMEND
	;;#ASMSTART
	v_dot2c_f32_f16 v69, v23, v35
	;;#ASMEND
	;;#ASMSTART
	v_dot2c_f32_f16 v68, v23, v31
	;;#ASMEND
	;;#ASMSTART
	v_dot2c_f32_f16 v67, v23, v27
	;;#ASMEND
	;;#ASMSTART
	v_dot2c_f32_f16 v66, v23, v19
	;;#ASMEND
	;;#ASMSTART
	v_dot2c_f32_f16 v65, v23, v15
	;;#ASMEND
	;;#ASMSTART
	v_dot2c_f32_f16 v64, v23, v11
	;;#ASMEND
	;;#ASMSTART
	v_dot2c_f32_f16 v55, v48, v40
	;;#ASMEND
	;;#ASMSTART
	v_dot2c_f32_f16 v84, v52, v40
	;;#ASMEND
	;;#ASMSTART
	v_dot2c_f32_f16 v77, v44, v40
	;;#ASMEND
	;;#ASMSTART
	v_dot2c_f32_f16 v90, v48, v36
	;;#ASMEND
	;;#ASMSTART
	v_dot2c_f32_f16 v83, v52, v36
	;;#ASMEND
	;;#ASMSTART
	v_dot2c_f32_f16 v76, v44, v36
	;;#ASMEND
	;;#ASMSTART
	v_dot2c_f32_f16 v89, v48, v32
	;;#ASMEND
	;;#ASMSTART
	v_dot2c_f32_f16 v82, v52, v32
	;;#ASMEND
	;;#ASMSTART
	v_dot2c_f32_f16 v75, v44, v32
	;;#ASMEND
	;;#ASMSTART
	v_dot2c_f32_f16 v88, v48, v28
	;;#ASMEND
	;;#ASMSTART
	v_dot2c_f32_f16 v81, v52, v28
	;;#ASMEND
	;;#ASMSTART
	v_dot2c_f32_f16 v87, v48, v20
	;;#ASMEND
	;;#ASMSTART
	v_dot2c_f32_f16 v80, v52, v20
	;;#ASMEND
	;;#ASMSTART
	v_dot2c_f32_f16 v86, v48, v16
	;;#ASMEND
	;;#ASMSTART
	v_dot2c_f32_f16 v79, v52, v16
	;;#ASMEND
	;;#ASMSTART
	v_dot2c_f32_f16 v85, v48, v12
	;;#ASMEND
	;;#ASMSTART
	v_dot2c_f32_f16 v78, v52, v12
	;;#ASMEND
	;;#ASMSTART
	v_dot2c_f32_f16 v74, v44, v28
	;;#ASMEND
	;;#ASMSTART
	v_dot2c_f32_f16 v73, v44, v20
	;;#ASMEND
	;;#ASMSTART
	v_dot2c_f32_f16 v72, v44, v16
	;;#ASMEND
	;;#ASMSTART
	v_dot2c_f32_f16 v71, v44, v12
	;;#ASMEND
	s_nop 0
	;;#ASMSTART
	v_dot2c_f32_f16 v70, v24, v40
	;;#ASMEND
	;;#ASMSTART
	v_dot2c_f32_f16 v69, v24, v36
	;;#ASMEND
	;; [unrolled: 3-line block ×28, first 2 shown]
	s_nop 0
	;;#ASMSTART
	v_dot2c_f32_f16 v70, v25, v41
	;;#ASMEND
	;;#ASMSTART
	v_dot2c_f32_f16 v69, v25, v37
	;;#ASMEND
	;; [unrolled: 3-line block ×7, first 2 shown]
	s_branch .LBB19_14
.LBB19_27:                              ;   in Loop: Header=BB19_12 Depth=1
	v_cmp_le_u32_e32 vcc, s19, v54
	s_and_saveexec_b64 s[6:7], vcc
	s_xor_b64 s[6:7], exec, s[6:7]
; %bb.28:                               ;   in Loop: Header=BB19_12 Depth=1
	v_add_u32_e32 v54, s44, v54
                                        ; implicit-def: $vgpr64
                                        ; implicit-def: $vgpr65
                                        ; implicit-def: $vgpr66
                                        ; implicit-def: $vgpr67
                                        ; implicit-def: $vgpr68
                                        ; implicit-def: $vgpr69
                                        ; implicit-def: $vgpr70
                                        ; implicit-def: $vgpr71
                                        ; implicit-def: $vgpr72
                                        ; implicit-def: $vgpr73
                                        ; implicit-def: $vgpr74
                                        ; implicit-def: $vgpr75
                                        ; implicit-def: $vgpr76
                                        ; implicit-def: $vgpr77
                                        ; implicit-def: $vgpr78
                                        ; implicit-def: $vgpr79
                                        ; implicit-def: $vgpr80
                                        ; implicit-def: $vgpr81
                                        ; implicit-def: $vgpr82
                                        ; implicit-def: $vgpr83
                                        ; implicit-def: $vgpr84
                                        ; implicit-def: $vgpr85
                                        ; implicit-def: $vgpr86
                                        ; implicit-def: $vgpr55
                                        ; implicit-def: $vgpr90
                                        ; implicit-def: $vgpr89
                                        ; implicit-def: $vgpr88
                                        ; implicit-def: $vgpr87
; %bb.29:                               ;   in Loop: Header=BB19_12 Depth=1
	s_andn2_saveexec_b64 s[36:37], s[6:7]
	s_cbranch_execz .LBB19_11
; %bb.30:                               ;   in Loop: Header=BB19_12 Depth=1
	;;#ASMSTART
	s_nop 0
	v_add_f32 v55, v55, v55 row_shr:8 bound_ctrl:0 
	;;#ASMEND
	;;#ASMSTART
	s_nop 0
	v_add_f32 v90, v90, v90 row_shr:8 bound_ctrl:0 
	;;#ASMEND
	;; [unrolled: 4-line block ×28, first 2 shown]
	s_nop 0
	;;#ASMSTART
	s_nop 0
	v_add_f32 v55, v55, v55 row_shr:4 bound_ctrl:0 
	;;#ASMEND
	;;#ASMSTART
	s_nop 0
	v_add_f32 v90, v90, v90 row_shr:4 bound_ctrl:0 
	;;#ASMEND
	;; [unrolled: 4-line block ×28, first 2 shown]
	s_nop 0
	;;#ASMSTART
	s_nop 0
	v_add_f32 v55, v55, v55 row_shr:2 bound_ctrl:0 
	;;#ASMEND
	;;#ASMSTART
	s_nop 0
	v_add_f32 v90, v90, v90 row_shr:2 bound_ctrl:0 
	;;#ASMEND
	;; [unrolled: 4-line block ×28, first 2 shown]
	s_nop 0
	;;#ASMSTART
	s_nop 0
	v_add_f32 v55, v55, v55 wave_shr:1 bound_ctrl:0
	;;#ASMEND
	;;#ASMSTART
	s_nop 0
	v_add_f32 v90, v90, v90 wave_shr:1 bound_ctrl:0
	;;#ASMEND
	;; [unrolled: 4-line block ×28, first 2 shown]
	s_nop 0
	;;#ASMSTART
	s_nop 0
	v_add_f32 v55, v55, v55 row_bcast:15 bound_ctrl:0
	;;#ASMEND
	;;#ASMSTART
	s_nop 0
	v_add_f32 v90, v90, v90 row_bcast:15 bound_ctrl:0
	;;#ASMEND
	;; [unrolled: 4-line block ×28, first 2 shown]
	s_nop 0
	;;#ASMSTART
	s_nop 0
	v_add_f32 v55, v55, v55 row_bcast:31 bound_ctrl:0
	;;#ASMEND
	;;#ASMSTART
	s_nop 0
	v_add_f32 v90, v90, v90 row_bcast:31 bound_ctrl:0
	;;#ASMEND
	;; [unrolled: 4-line block ×28, first 2 shown]
	s_and_saveexec_b64 s[38:39], s[0:1]
	s_cbranch_execz .LBB19_60
; %bb.31:                               ;   in Loop: Header=BB19_12 Depth=1
	v_cmp_ne_u32_e32 vcc, 0, v2
	s_and_saveexec_b64 s[6:7], vcc
	s_cbranch_execnz .LBB19_65
; %bb.32:                               ;   in Loop: Header=BB19_12 Depth=1
	s_or_b64 exec, exec, s[6:7]
	v_cmp_ne_u32_e64 s[6:7], 0, v3
	s_and_saveexec_b64 s[8:9], s[6:7]
	s_cbranch_execnz .LBB19_66
.LBB19_33:                              ;   in Loop: Header=BB19_12 Depth=1
	s_or_b64 exec, exec, s[8:9]
	v_cmp_ne_u32_e64 s[8:9], 0, v4
	s_and_saveexec_b64 s[10:11], s[8:9]
	s_cbranch_execnz .LBB19_67
.LBB19_34:                              ;   in Loop: Header=BB19_12 Depth=1
	s_or_b64 exec, exec, s[10:11]
	v_cmp_ne_u32_e64 s[10:11], 0, v5
	s_and_saveexec_b64 s[12:13], s[10:11]
	s_cbranch_execnz .LBB19_68
.LBB19_35:                              ;   in Loop: Header=BB19_12 Depth=1
	s_or_b64 exec, exec, s[12:13]
	v_cmp_ne_u32_e64 s[12:13], 0, v6
	s_and_saveexec_b64 s[14:15], s[12:13]
	s_cbranch_execnz .LBB19_69
.LBB19_36:                              ;   in Loop: Header=BB19_12 Depth=1
	s_or_b64 exec, exec, s[14:15]
	v_cmp_ne_u32_e64 s[14:15], 0, v7
	s_and_saveexec_b64 s[16:17], s[14:15]
	s_cbranch_execnz .LBB19_70
.LBB19_37:                              ;   in Loop: Header=BB19_12 Depth=1
	s_or_b64 exec, exec, s[16:17]
	v_cmp_ne_u32_e64 s[16:17], 0, v8
	s_and_saveexec_b64 s[40:41], s[16:17]
	s_cbranch_execnz .LBB19_71
.LBB19_38:                              ;   in Loop: Header=BB19_12 Depth=1
	s_or_b64 exec, exec, s[40:41]
	v_add_u32_e32 v58, s19, v54
	s_and_saveexec_b64 s[40:41], vcc
	s_cbranch_execnz .LBB19_72
.LBB19_39:                              ;   in Loop: Header=BB19_12 Depth=1
	s_or_b64 exec, exec, s[40:41]
	s_and_saveexec_b64 s[40:41], s[6:7]
	s_cbranch_execnz .LBB19_73
.LBB19_40:                              ;   in Loop: Header=BB19_12 Depth=1
	s_or_b64 exec, exec, s[40:41]
	s_and_saveexec_b64 s[40:41], s[8:9]
	s_cbranch_execnz .LBB19_74
.LBB19_41:                              ;   in Loop: Header=BB19_12 Depth=1
	s_or_b64 exec, exec, s[40:41]
	s_and_saveexec_b64 s[40:41], s[10:11]
	s_cbranch_execnz .LBB19_75
.LBB19_42:                              ;   in Loop: Header=BB19_12 Depth=1
	s_or_b64 exec, exec, s[40:41]
	s_and_saveexec_b64 s[40:41], s[12:13]
	s_cbranch_execnz .LBB19_76
.LBB19_43:                              ;   in Loop: Header=BB19_12 Depth=1
	s_or_b64 exec, exec, s[40:41]
	s_and_saveexec_b64 s[40:41], s[14:15]
	s_cbranch_execnz .LBB19_77
.LBB19_44:                              ;   in Loop: Header=BB19_12 Depth=1
	s_or_b64 exec, exec, s[40:41]
	s_and_saveexec_b64 s[40:41], s[16:17]
	s_cbranch_execnz .LBB19_78
.LBB19_45:                              ;   in Loop: Header=BB19_12 Depth=1
	s_or_b64 exec, exec, s[40:41]
	v_add_u32_e32 v58, s19, v58
	s_and_saveexec_b64 s[40:41], vcc
	s_cbranch_execnz .LBB19_79
.LBB19_46:                              ;   in Loop: Header=BB19_12 Depth=1
	s_or_b64 exec, exec, s[40:41]
	s_and_saveexec_b64 s[40:41], s[6:7]
	s_cbranch_execnz .LBB19_80
.LBB19_47:                              ;   in Loop: Header=BB19_12 Depth=1
	s_or_b64 exec, exec, s[40:41]
	s_and_saveexec_b64 s[40:41], s[8:9]
	s_cbranch_execnz .LBB19_81
.LBB19_48:                              ;   in Loop: Header=BB19_12 Depth=1
	s_or_b64 exec, exec, s[40:41]
	s_and_saveexec_b64 s[40:41], s[10:11]
	s_cbranch_execnz .LBB19_82
.LBB19_49:                              ;   in Loop: Header=BB19_12 Depth=1
	s_or_b64 exec, exec, s[40:41]
	s_and_saveexec_b64 s[40:41], s[12:13]
	s_cbranch_execnz .LBB19_83
.LBB19_50:                              ;   in Loop: Header=BB19_12 Depth=1
	s_or_b64 exec, exec, s[40:41]
	s_and_saveexec_b64 s[40:41], s[14:15]
	s_cbranch_execnz .LBB19_84
.LBB19_51:                              ;   in Loop: Header=BB19_12 Depth=1
	s_or_b64 exec, exec, s[40:41]
	s_and_saveexec_b64 s[40:41], s[16:17]
	s_cbranch_execnz .LBB19_85
.LBB19_52:                              ;   in Loop: Header=BB19_12 Depth=1
	s_or_b64 exec, exec, s[40:41]
	v_add_u32_e32 v58, s19, v58
	s_and_saveexec_b64 s[40:41], vcc
	s_cbranch_execnz .LBB19_86
.LBB19_53:                              ;   in Loop: Header=BB19_12 Depth=1
	s_or_b64 exec, exec, s[40:41]
	s_and_saveexec_b64 s[40:41], s[6:7]
	s_cbranch_execnz .LBB19_87
.LBB19_54:                              ;   in Loop: Header=BB19_12 Depth=1
	s_or_b64 exec, exec, s[40:41]
	s_and_saveexec_b64 s[6:7], s[8:9]
	s_cbranch_execnz .LBB19_88
.LBB19_55:                              ;   in Loop: Header=BB19_12 Depth=1
	s_or_b64 exec, exec, s[6:7]
	s_and_saveexec_b64 s[6:7], s[10:11]
	s_cbranch_execnz .LBB19_89
.LBB19_56:                              ;   in Loop: Header=BB19_12 Depth=1
	s_or_b64 exec, exec, s[6:7]
	s_and_saveexec_b64 s[6:7], s[12:13]
	s_cbranch_execnz .LBB19_90
.LBB19_57:                              ;   in Loop: Header=BB19_12 Depth=1
	s_or_b64 exec, exec, s[6:7]
	s_and_saveexec_b64 s[6:7], s[14:15]
	s_cbranch_execnz .LBB19_91
.LBB19_58:                              ;   in Loop: Header=BB19_12 Depth=1
	s_or_b64 exec, exec, s[6:7]
	s_and_b64 exec, exec, s[16:17]
	s_cbranch_execz .LBB19_60
.LBB19_59:                              ;   in Loop: Header=BB19_12 Depth=1
	v_cvt_f16_f32_e32 v12, v64
	v_add_u32_e32 v58, 6, v58
	v_lshl_add_u64 v[10:11], v[58:59], 1, s[24:25]
	global_store_short v[10:11], v12, off
.LBB19_60:                              ;   in Loop: Header=BB19_12 Depth=1
	s_or_b64 exec, exec, s[38:39]
	v_add_u32_e32 v54, s44, v54
	v_add_u32_e32 v10, 7, v54
	v_cmp_gt_u32_e32 vcc, s19, v54
	v_cmp_le_u32_e64 s[6:7], s19, v10
	s_and_b64 s[6:7], vcc, s[6:7]
	s_and_saveexec_b64 s[8:9], s[6:7]
	s_cbranch_execz .LBB19_10
; %bb.61:                               ;   in Loop: Header=BB19_12 Depth=1
	v_cmp_ne_u32_e32 vcc, s45, v54
	s_and_saveexec_b64 s[10:11], vcc
	s_cbranch_execz .LBB19_9
; %bb.62:                               ;   in Loop: Header=BB19_12 Depth=1
	v_subrev_u32_e32 v10, s45, v54
	v_cmp_lt_u32_e32 vcc, 1, v10
	s_mov_b64 s[12:13], 0
	s_mov_b64 s[14:15], 0
	v_cndmask_b32_e32 v10, 1, v10, vcc
.LBB19_63:                              ;   Parent Loop BB19_12 Depth=1
                                        ; =>  This Inner Loop Header: Depth=2
	s_cmp_lg_u32 s14, 6
	s_cselect_b64 vcc, -1, 0
	s_cmp_lg_u32 s14, 5
	v_cndmask_b32_e32 v8, 0, v8, vcc
	s_cselect_b64 vcc, -1, 0
	s_cmp_lg_u32 s14, 4
	v_cndmask_b32_e32 v7, 0, v7, vcc
	;; [unrolled: 3-line block ×6, first 2 shown]
	s_cselect_b64 vcc, -1, 0
	s_add_u32 s14, s14, 1
	s_addc_u32 s15, s15, 0
	v_cmp_eq_u32_e64 s[6:7], s14, v10
	s_or_b64 s[12:13], s[6:7], s[12:13]
	v_cndmask_b32_e32 v2, 0, v2, vcc
	s_andn2_b64 exec, exec, s[12:13]
	s_cbranch_execnz .LBB19_63
; %bb.64:                               ;   in Loop: Header=BB19_12 Depth=1
	s_or_b64 exec, exec, s[12:13]
	s_branch .LBB19_9
.LBB19_65:                              ;   in Loop: Header=BB19_12 Depth=1
	v_cvt_f16_f32_e32 v12, v55
	v_mov_b32_e32 v55, v59
	v_lshl_add_u64 v[10:11], v[54:55], 1, s[24:25]
	global_store_short v[10:11], v12, off
	s_or_b64 exec, exec, s[6:7]
	v_cmp_ne_u32_e64 s[6:7], 0, v3
	s_and_saveexec_b64 s[8:9], s[6:7]
	s_cbranch_execz .LBB19_33
.LBB19_66:                              ;   in Loop: Header=BB19_12 Depth=1
	v_cvt_f16_f32_e32 v12, v90
	v_mov_b32_e32 v55, v59
	v_lshl_add_u64 v[10:11], v[54:55], 1, s[30:31]
	global_store_short v[10:11], v12, off
	s_or_b64 exec, exec, s[8:9]
	v_cmp_ne_u32_e64 s[8:9], 0, v4
	s_and_saveexec_b64 s[10:11], s[8:9]
	s_cbranch_execz .LBB19_34
.LBB19_67:                              ;   in Loop: Header=BB19_12 Depth=1
	v_cvt_f16_f32_e32 v12, v89
	v_add_u32_e32 v58, 2, v54
	v_lshl_add_u64 v[10:11], v[58:59], 1, s[24:25]
	global_store_short v[10:11], v12, off
	s_or_b64 exec, exec, s[10:11]
	v_cmp_ne_u32_e64 s[10:11], 0, v5
	s_and_saveexec_b64 s[12:13], s[10:11]
	s_cbranch_execz .LBB19_35
.LBB19_68:                              ;   in Loop: Header=BB19_12 Depth=1
	v_cvt_f16_f32_e32 v12, v88
	v_add_u32_e32 v58, 3, v54
	v_lshl_add_u64 v[10:11], v[58:59], 1, s[24:25]
	global_store_short v[10:11], v12, off
	s_or_b64 exec, exec, s[12:13]
	v_cmp_ne_u32_e64 s[12:13], 0, v6
	s_and_saveexec_b64 s[14:15], s[12:13]
	s_cbranch_execz .LBB19_36
.LBB19_69:                              ;   in Loop: Header=BB19_12 Depth=1
	v_cvt_f16_f32_e32 v12, v87
	v_add_u32_e32 v58, 4, v54
	v_lshl_add_u64 v[10:11], v[58:59], 1, s[24:25]
	global_store_short v[10:11], v12, off
	s_or_b64 exec, exec, s[14:15]
	v_cmp_ne_u32_e64 s[14:15], 0, v7
	s_and_saveexec_b64 s[16:17], s[14:15]
	s_cbranch_execz .LBB19_37
.LBB19_70:                              ;   in Loop: Header=BB19_12 Depth=1
	v_cvt_f16_f32_e32 v12, v86
	v_add_u32_e32 v58, 5, v54
	v_lshl_add_u64 v[10:11], v[58:59], 1, s[24:25]
	global_store_short v[10:11], v12, off
	s_or_b64 exec, exec, s[16:17]
	v_cmp_ne_u32_e64 s[16:17], 0, v8
	s_and_saveexec_b64 s[40:41], s[16:17]
	s_cbranch_execz .LBB19_38
.LBB19_71:                              ;   in Loop: Header=BB19_12 Depth=1
	v_cvt_f16_f32_e32 v12, v85
	v_add_u32_e32 v58, 6, v54
	v_lshl_add_u64 v[10:11], v[58:59], 1, s[24:25]
	global_store_short v[10:11], v12, off
	s_or_b64 exec, exec, s[40:41]
	v_add_u32_e32 v58, s19, v54
	s_and_saveexec_b64 s[40:41], vcc
	s_cbranch_execz .LBB19_39
.LBB19_72:                              ;   in Loop: Header=BB19_12 Depth=1
	v_cvt_f16_f32_e32 v12, v84
	v_lshl_add_u64 v[10:11], v[58:59], 1, s[24:25]
	global_store_short v[10:11], v12, off
	s_or_b64 exec, exec, s[40:41]
	s_and_saveexec_b64 s[40:41], s[6:7]
	s_cbranch_execz .LBB19_40
.LBB19_73:                              ;   in Loop: Header=BB19_12 Depth=1
	v_cvt_f16_f32_e32 v12, v83
	v_add_u32_e32 v10, 1, v58
	v_mov_b32_e32 v11, v59
	v_lshl_add_u64 v[10:11], v[10:11], 1, s[24:25]
	global_store_short v[10:11], v12, off
	s_or_b64 exec, exec, s[40:41]
	s_and_saveexec_b64 s[40:41], s[8:9]
	s_cbranch_execz .LBB19_41
.LBB19_74:                              ;   in Loop: Header=BB19_12 Depth=1
	v_cvt_f16_f32_e32 v12, v82
	v_add_u32_e32 v10, 2, v58
	v_mov_b32_e32 v11, v59
	v_lshl_add_u64 v[10:11], v[10:11], 1, s[24:25]
	global_store_short v[10:11], v12, off
	s_or_b64 exec, exec, s[40:41]
	s_and_saveexec_b64 s[40:41], s[10:11]
	s_cbranch_execz .LBB19_42
.LBB19_75:                              ;   in Loop: Header=BB19_12 Depth=1
	v_cvt_f16_f32_e32 v12, v81
	v_add_u32_e32 v10, 3, v58
	v_mov_b32_e32 v11, v59
	v_lshl_add_u64 v[10:11], v[10:11], 1, s[24:25]
	global_store_short v[10:11], v12, off
	s_or_b64 exec, exec, s[40:41]
	s_and_saveexec_b64 s[40:41], s[12:13]
	s_cbranch_execz .LBB19_43
.LBB19_76:                              ;   in Loop: Header=BB19_12 Depth=1
	v_cvt_f16_f32_e32 v12, v80
	v_add_u32_e32 v10, 4, v58
	v_mov_b32_e32 v11, v59
	v_lshl_add_u64 v[10:11], v[10:11], 1, s[24:25]
	global_store_short v[10:11], v12, off
	s_or_b64 exec, exec, s[40:41]
	s_and_saveexec_b64 s[40:41], s[14:15]
	s_cbranch_execz .LBB19_44
.LBB19_77:                              ;   in Loop: Header=BB19_12 Depth=1
	v_cvt_f16_f32_e32 v12, v79
	v_add_u32_e32 v10, 5, v58
	v_mov_b32_e32 v11, v59
	v_lshl_add_u64 v[10:11], v[10:11], 1, s[24:25]
	global_store_short v[10:11], v12, off
	s_or_b64 exec, exec, s[40:41]
	s_and_saveexec_b64 s[40:41], s[16:17]
	s_cbranch_execz .LBB19_45
.LBB19_78:                              ;   in Loop: Header=BB19_12 Depth=1
	v_cvt_f16_f32_e32 v12, v78
	v_add_u32_e32 v10, 6, v58
	v_mov_b32_e32 v11, v59
	v_lshl_add_u64 v[10:11], v[10:11], 1, s[24:25]
	global_store_short v[10:11], v12, off
	s_or_b64 exec, exec, s[40:41]
	v_add_u32_e32 v58, s19, v58
	s_and_saveexec_b64 s[40:41], vcc
	s_cbranch_execz .LBB19_46
.LBB19_79:                              ;   in Loop: Header=BB19_12 Depth=1
	v_cvt_f16_f32_e32 v12, v77
	v_lshl_add_u64 v[10:11], v[58:59], 1, s[24:25]
	global_store_short v[10:11], v12, off
	s_or_b64 exec, exec, s[40:41]
	s_and_saveexec_b64 s[40:41], s[6:7]
	s_cbranch_execz .LBB19_47
.LBB19_80:                              ;   in Loop: Header=BB19_12 Depth=1
	v_cvt_f16_f32_e32 v12, v76
	v_add_u32_e32 v10, 1, v58
	v_mov_b32_e32 v11, v59
	v_lshl_add_u64 v[10:11], v[10:11], 1, s[24:25]
	global_store_short v[10:11], v12, off
	s_or_b64 exec, exec, s[40:41]
	s_and_saveexec_b64 s[40:41], s[8:9]
	s_cbranch_execz .LBB19_48
.LBB19_81:                              ;   in Loop: Header=BB19_12 Depth=1
	v_cvt_f16_f32_e32 v12, v75
	v_add_u32_e32 v10, 2, v58
	v_mov_b32_e32 v11, v59
	v_lshl_add_u64 v[10:11], v[10:11], 1, s[24:25]
	global_store_short v[10:11], v12, off
	s_or_b64 exec, exec, s[40:41]
	s_and_saveexec_b64 s[40:41], s[10:11]
	s_cbranch_execz .LBB19_49
.LBB19_82:                              ;   in Loop: Header=BB19_12 Depth=1
	v_cvt_f16_f32_e32 v12, v74
	v_add_u32_e32 v10, 3, v58
	v_mov_b32_e32 v11, v59
	v_lshl_add_u64 v[10:11], v[10:11], 1, s[24:25]
	global_store_short v[10:11], v12, off
	s_or_b64 exec, exec, s[40:41]
	s_and_saveexec_b64 s[40:41], s[12:13]
	s_cbranch_execz .LBB19_50
.LBB19_83:                              ;   in Loop: Header=BB19_12 Depth=1
	v_cvt_f16_f32_e32 v12, v73
	v_add_u32_e32 v10, 4, v58
	v_mov_b32_e32 v11, v59
	v_lshl_add_u64 v[10:11], v[10:11], 1, s[24:25]
	global_store_short v[10:11], v12, off
	s_or_b64 exec, exec, s[40:41]
	s_and_saveexec_b64 s[40:41], s[14:15]
	s_cbranch_execz .LBB19_51
.LBB19_84:                              ;   in Loop: Header=BB19_12 Depth=1
	v_cvt_f16_f32_e32 v12, v72
	v_add_u32_e32 v10, 5, v58
	v_mov_b32_e32 v11, v59
	v_lshl_add_u64 v[10:11], v[10:11], 1, s[24:25]
	global_store_short v[10:11], v12, off
	s_or_b64 exec, exec, s[40:41]
	s_and_saveexec_b64 s[40:41], s[16:17]
	s_cbranch_execz .LBB19_52
.LBB19_85:                              ;   in Loop: Header=BB19_12 Depth=1
	v_cvt_f16_f32_e32 v12, v71
	v_add_u32_e32 v10, 6, v58
	v_mov_b32_e32 v11, v59
	v_lshl_add_u64 v[10:11], v[10:11], 1, s[24:25]
	global_store_short v[10:11], v12, off
	s_or_b64 exec, exec, s[40:41]
	v_add_u32_e32 v58, s19, v58
	s_and_saveexec_b64 s[40:41], vcc
	s_cbranch_execz .LBB19_53
.LBB19_86:                              ;   in Loop: Header=BB19_12 Depth=1
	v_cvt_f16_f32_e32 v12, v70
	v_lshl_add_u64 v[10:11], v[58:59], 1, s[24:25]
	global_store_short v[10:11], v12, off
	s_or_b64 exec, exec, s[40:41]
	s_and_saveexec_b64 s[40:41], s[6:7]
	s_cbranch_execz .LBB19_54
.LBB19_87:                              ;   in Loop: Header=BB19_12 Depth=1
	v_cvt_f16_f32_e32 v12, v69
	v_add_u32_e32 v10, 1, v58
	v_mov_b32_e32 v11, v59
	v_lshl_add_u64 v[10:11], v[10:11], 1, s[24:25]
	global_store_short v[10:11], v12, off
	s_or_b64 exec, exec, s[40:41]
	s_and_saveexec_b64 s[6:7], s[8:9]
	s_cbranch_execz .LBB19_55
.LBB19_88:                              ;   in Loop: Header=BB19_12 Depth=1
	v_cvt_f16_f32_e32 v12, v68
	v_add_u32_e32 v10, 2, v58
	v_mov_b32_e32 v11, v59
	v_lshl_add_u64 v[10:11], v[10:11], 1, s[24:25]
	global_store_short v[10:11], v12, off
	s_or_b64 exec, exec, s[6:7]
	s_and_saveexec_b64 s[6:7], s[10:11]
	s_cbranch_execz .LBB19_56
.LBB19_89:                              ;   in Loop: Header=BB19_12 Depth=1
	v_cvt_f16_f32_e32 v12, v67
	v_add_u32_e32 v10, 3, v58
	v_mov_b32_e32 v11, v59
	v_lshl_add_u64 v[10:11], v[10:11], 1, s[24:25]
	global_store_short v[10:11], v12, off
	s_or_b64 exec, exec, s[6:7]
	s_and_saveexec_b64 s[6:7], s[12:13]
	s_cbranch_execz .LBB19_57
.LBB19_90:                              ;   in Loop: Header=BB19_12 Depth=1
	v_cvt_f16_f32_e32 v12, v66
	v_add_u32_e32 v10, 4, v58
	v_mov_b32_e32 v11, v59
	v_lshl_add_u64 v[10:11], v[10:11], 1, s[24:25]
	global_store_short v[10:11], v12, off
	s_or_b64 exec, exec, s[6:7]
	s_and_saveexec_b64 s[6:7], s[14:15]
	s_cbranch_execz .LBB19_58
.LBB19_91:                              ;   in Loop: Header=BB19_12 Depth=1
	v_cvt_f16_f32_e32 v12, v65
	v_add_u32_e32 v10, 5, v58
	v_mov_b32_e32 v11, v59
	v_lshl_add_u64 v[10:11], v[10:11], 1, s[24:25]
	global_store_short v[10:11], v12, off
	s_or_b64 exec, exec, s[6:7]
	s_and_b64 exec, exec, s[16:17]
	s_cbranch_execnz .LBB19_59
	s_branch .LBB19_60
.LBB19_92:
	s_endpgm
	.section	.rodata,"a",@progbits
	.p2align	6, 0x0
	.amdhsa_kernel _Z16wvSplitK_hf_big_I6__halfLi64ELi7ELi16ELi8ELi1ELi4EEviiPKT_S3_PS1_ii
		.amdhsa_group_segment_fixed_size 65536
		.amdhsa_private_segment_fixed_size 0
		.amdhsa_kernarg_size 40
		.amdhsa_user_sgpr_count 2
		.amdhsa_user_sgpr_dispatch_ptr 0
		.amdhsa_user_sgpr_queue_ptr 0
		.amdhsa_user_sgpr_kernarg_segment_ptr 1
		.amdhsa_user_sgpr_dispatch_id 0
		.amdhsa_user_sgpr_kernarg_preload_length 0
		.amdhsa_user_sgpr_kernarg_preload_offset 0
		.amdhsa_user_sgpr_private_segment_size 0
		.amdhsa_uses_dynamic_stack 0
		.amdhsa_enable_private_segment 0
		.amdhsa_system_sgpr_workgroup_id_x 1
		.amdhsa_system_sgpr_workgroup_id_y 0
		.amdhsa_system_sgpr_workgroup_id_z 0
		.amdhsa_system_sgpr_workgroup_info 0
		.amdhsa_system_vgpr_workitem_id 1
		.amdhsa_next_free_vgpr 92
		.amdhsa_next_free_sgpr 48
		.amdhsa_accum_offset 92
		.amdhsa_reserve_vcc 1
		.amdhsa_float_round_mode_32 0
		.amdhsa_float_round_mode_16_64 0
		.amdhsa_float_denorm_mode_32 3
		.amdhsa_float_denorm_mode_16_64 3
		.amdhsa_dx10_clamp 1
		.amdhsa_ieee_mode 1
		.amdhsa_fp16_overflow 0
		.amdhsa_tg_split 0
		.amdhsa_exception_fp_ieee_invalid_op 0
		.amdhsa_exception_fp_denorm_src 0
		.amdhsa_exception_fp_ieee_div_zero 0
		.amdhsa_exception_fp_ieee_overflow 0
		.amdhsa_exception_fp_ieee_underflow 0
		.amdhsa_exception_fp_ieee_inexact 0
		.amdhsa_exception_int_div_zero 0
	.end_amdhsa_kernel
	.section	.text._Z16wvSplitK_hf_big_I6__halfLi64ELi7ELi16ELi8ELi1ELi4EEviiPKT_S3_PS1_ii,"axG",@progbits,_Z16wvSplitK_hf_big_I6__halfLi64ELi7ELi16ELi8ELi1ELi4EEviiPKT_S3_PS1_ii,comdat
.Lfunc_end19:
	.size	_Z16wvSplitK_hf_big_I6__halfLi64ELi7ELi16ELi8ELi1ELi4EEviiPKT_S3_PS1_ii, .Lfunc_end19-_Z16wvSplitK_hf_big_I6__halfLi64ELi7ELi16ELi8ELi1ELi4EEviiPKT_S3_PS1_ii
                                        ; -- End function
	.section	.AMDGPU.csdata,"",@progbits
; Kernel info:
; codeLenInByte = 6956
; NumSgprs: 54
; NumVgprs: 92
; NumAgprs: 0
; TotalNumVgprs: 92
; ScratchSize: 0
; MemoryBound: 0
; FloatMode: 240
; IeeeMode: 1
; LDSByteSize: 65536 bytes/workgroup (compile time only)
; SGPRBlocks: 6
; VGPRBlocks: 11
; NumSGPRsForWavesPerEU: 54
; NumVGPRsForWavesPerEU: 92
; AccumOffset: 92
; Occupancy: 4
; WaveLimiterHint : 0
; COMPUTE_PGM_RSRC2:SCRATCH_EN: 0
; COMPUTE_PGM_RSRC2:USER_SGPR: 2
; COMPUTE_PGM_RSRC2:TRAP_HANDLER: 0
; COMPUTE_PGM_RSRC2:TGID_X_EN: 1
; COMPUTE_PGM_RSRC2:TGID_Y_EN: 0
; COMPUTE_PGM_RSRC2:TGID_Z_EN: 0
; COMPUTE_PGM_RSRC2:TIDIG_COMP_CNT: 1
; COMPUTE_PGM_RSRC3_GFX90A:ACCUM_OFFSET: 22
; COMPUTE_PGM_RSRC3_GFX90A:TG_SPLIT: 0
	.section	.text._Z16wvSplitK_hf_sml_I14__hip_bfloat16Li64ELi2ELi16ELi8ELi2ELi1EEviiPKT_S3_PS1_ii,"axG",@progbits,_Z16wvSplitK_hf_sml_I14__hip_bfloat16Li64ELi2ELi16ELi8ELi2ELi1EEviiPKT_S3_PS1_ii,comdat
	.protected	_Z16wvSplitK_hf_sml_I14__hip_bfloat16Li64ELi2ELi16ELi8ELi2ELi1EEviiPKT_S3_PS1_ii ; -- Begin function _Z16wvSplitK_hf_sml_I14__hip_bfloat16Li64ELi2ELi16ELi8ELi2ELi1EEviiPKT_S3_PS1_ii
	.globl	_Z16wvSplitK_hf_sml_I14__hip_bfloat16Li64ELi2ELi16ELi8ELi2ELi1EEviiPKT_S3_PS1_ii
	.p2align	8
	.type	_Z16wvSplitK_hf_sml_I14__hip_bfloat16Li64ELi2ELi16ELi8ELi2ELi1EEviiPKT_S3_PS1_ii,@function
_Z16wvSplitK_hf_sml_I14__hip_bfloat16Li64ELi2ELi16ELi8ELi2ELi1EEviiPKT_S3_PS1_ii: ; @_Z16wvSplitK_hf_sml_I14__hip_bfloat16Li64ELi2ELi16ELi8ELi2ELi1EEviiPKT_S3_PS1_ii
; %bb.0:
	s_load_dwordx2 s[6:7], s[0:1], 0x0
	v_and_b32_e32 v2, 0x3ff, v0
	v_bfe_u32 v3, v0, 10, 10
	v_lshlrev_b32_e32 v36, 3, v2
	s_mov_b32 s3, 0
	s_waitcnt lgkmcnt(0)
	s_cmp_lg_u32 s6, 0
	s_cselect_b64 s[4:5], -1, 0
	s_cmp_eq_u32 s6, 0
	s_cbranch_scc1 .LBB20_6
; %bb.1:
	s_load_dwordx2 s[8:9], s[0:1], 0x10
	v_lshlrev_b32_e32 v0, 4, v2
	s_min_i32 s16, s6, 0x8000
	v_lshl_add_u32 v4, v3, 10, v0
	v_lshl_add_u32 v5, v3, 9, v36
	s_mov_b64 s[10:11], 0
	v_mov_b32_e32 v1, 0
                                        ; implicit-def: $sgpr12_sgpr13
	s_branch .LBB20_3
.LBB20_2:                               ;   in Loop: Header=BB20_3 Depth=1
	s_or_b64 exec, exec, s[14:15]
	s_and_b64 s[14:15], exec, s[12:13]
	s_or_b64 s[10:11], s[14:15], s[10:11]
	s_andn2_b64 exec, exec, s[10:11]
	s_cbranch_execz .LBB20_5
.LBB20_3:                               ; =>This Inner Loop Header: Depth=1
	v_add_u32_e32 v0, s3, v5
	v_cmp_gt_u32_e32 vcc, s16, v0
	s_or_b64 s[12:13], s[12:13], exec
	s_and_saveexec_b64 s[14:15], vcc
	s_cbranch_execz .LBB20_2
; %bb.4:                                ;   in Loop: Header=BB20_3 Depth=1
	s_waitcnt lgkmcnt(0)
	v_lshl_add_u64 v[6:7], v[0:1], 1, s[8:9]
	global_load_dwordx4 v[6:9], v[6:7], off
	s_addk_i32 s3, 0x2000
	s_cmp_ge_u32 s3, s16
	s_cselect_b64 s[18:19], -1, 0
	s_andn2_b64 s[12:13], s[12:13], exec
	s_and_b64 s[18:19], s[18:19], exec
	s_or_b64 s[12:13], s[12:13], s[18:19]
	s_waitcnt vmcnt(0)
	ds_write_b128 v4, v[6:9]
	v_add_u32_e32 v4, 0x4000, v4
	s_branch .LBB20_2
.LBB20_5:
	s_or_b64 exec, exec, s[10:11]
.LBB20_6:
	s_load_dwordx2 s[12:13], s[0:1], 0x20
	s_waitcnt lgkmcnt(0)
	s_barrier
	v_cmp_gt_u32_e32 vcc, s12, v3
	s_and_saveexec_b64 s[8:9], vcc
	s_cbranch_execz .LBB20_36
; %bb.7:
	s_mul_i32 s2, s2, s12
	v_add_u32_e32 v0, s2, v3
	v_lshlrev_b32_e32 v32, 1, v0
	v_cmp_gt_u32_e32 vcc, s7, v32
	s_and_b64 exec, exec, vcc
	s_cbranch_execz .LBB20_36
; %bb.8:
	s_load_dwordx2 s[8:9], s[0:1], 0x8
	s_load_dwordx2 s[10:11], s[0:1], 0x18
	s_mul_i32 s2, s12, s13
	v_mul_lo_u32 v0, s6, v0
	s_lshl_b32 s20, s2, 1
	v_lshlrev_b32_e32 v38, 1, v0
	s_mul_i32 s2, s2, s6
	v_cndmask_b32_e64 v0, 0, 1, s[4:5]
	v_cmp_eq_u32_e64 s[0:1], 63, v2
	s_ashr_i32 s13, s6, 31
	s_mov_b32 s12, s6
	v_lshlrev_b32_e32 v37, 4, v2
	s_lshl_b32 s21, s2, 1
	s_mov_b64 s[14:15], 0
	v_cmp_ne_u32_e64 s[2:3], 1, v0
	v_mov_b32_e32 v35, 0
	s_mov_b32 s22, 0x7f800000
	s_movk_i32 s23, 0x7fff
                                        ; implicit-def: $vgpr2_vgpr3
                                        ; implicit-def: $vgpr6_vgpr7
                                        ; implicit-def: $vgpr8_vgpr9_vgpr10_vgpr11
                                        ; implicit-def: $vgpr12_vgpr13_vgpr14_vgpr15
                                        ; implicit-def: $vgpr16_vgpr17_vgpr18_vgpr19
                                        ; implicit-def: $vgpr20_vgpr21_vgpr22_vgpr23
	s_branch .LBB20_11
.LBB20_9:                               ;   in Loop: Header=BB20_11 Depth=1
	s_or_b64 exec, exec, s[16:17]
	global_store_short_d16_hi v[26:27], v25, off offset:2
.LBB20_10:                              ;   in Loop: Header=BB20_11 Depth=1
	s_or_b64 exec, exec, s[4:5]
	v_add_u32_e32 v32, s20, v32
	v_cmp_le_u32_e32 vcc, s7, v32
	s_or_b64 s[14:15], vcc, s[14:15]
	v_add_u32_e32 v38, s21, v38
	s_andn2_b64 exec, exec, s[14:15]
	s_cbranch_execz .LBB20_36
.LBB20_11:                              ; =>This Loop Header: Depth=1
                                        ;     Child Loop BB20_15 Depth 2
	s_and_b64 vcc, exec, s[2:3]
	s_cbranch_vccnz .LBB20_26
; %bb.12:                               ;   in Loop: Header=BB20_11 Depth=1
	v_mov_b32_e32 v24, 0
	v_add_u32_e32 v33, v36, v38
	s_mov_b32 s24, 0
	v_mov_b32_e32 v39, v37
	v_mov_b32_e32 v25, v24
	;; [unrolled: 1-line block ×8, first 2 shown]
	s_branch .LBB20_15
.LBB20_13:                              ;   in Loop: Header=BB20_15 Depth=2
	s_or_b64 exec, exec, s[16:17]
.LBB20_14:                              ;   in Loop: Header=BB20_15 Depth=2
	s_or_b64 exec, exec, s[4:5]
	s_addk_i32 s24, 0x400
	s_cmp_ge_u32 s24, s6
	v_add_u32_e32 v39, 0x800, v39
	s_cbranch_scc1 .LBB20_27
.LBB20_15:                              ;   Parent Loop BB20_11 Depth=1
                                        ; =>  This Inner Loop Header: Depth=2
	v_add_u32_e32 v34, s24, v36
	v_cmp_gt_u32_e32 vcc, s6, v34
	v_add_u32_e32 v40, 0x200, v34
	s_and_saveexec_b64 s[16:17], vcc
	s_cbranch_execnz .LBB20_18
; %bb.16:                               ;   in Loop: Header=BB20_15 Depth=2
	s_or_b64 exec, exec, s[16:17]
	s_and_saveexec_b64 s[16:17], vcc
	s_cbranch_execnz .LBB20_21
.LBB20_17:                              ;   in Loop: Header=BB20_15 Depth=2
	s_or_b64 exec, exec, s[16:17]
	s_and_saveexec_b64 s[4:5], vcc
	s_cbranch_execz .LBB20_14
	s_branch .LBB20_24
.LBB20_18:                              ;   in Loop: Header=BB20_15 Depth=2
	v_add_u32_e32 v34, s24, v33
	s_waitcnt lgkmcnt(0)
	v_lshl_add_u64 v[42:43], v[34:35], 1, s[8:9]
	v_lshl_add_u64 v[44:45], s[12:13], 1, v[42:43]
	global_load_dwordx4 v[20:23], v[42:43], off nt
	global_load_dwordx4 v[12:15], v[44:45], off nt
	v_cmp_gt_u32_e64 s[4:5], s6, v40
	s_and_saveexec_b64 s[18:19], s[4:5]
	s_cbranch_execz .LBB20_20
; %bb.19:                               ;   in Loop: Header=BB20_15 Depth=2
	v_add_u32_e32 v34, 0x200, v34
	v_lshl_add_u64 v[42:43], v[34:35], 1, s[8:9]
	v_lshl_add_u64 v[44:45], s[12:13], 1, v[42:43]
	global_load_dwordx4 v[16:19], v[42:43], off nt
	global_load_dwordx4 v[8:11], v[44:45], off nt
.LBB20_20:                              ;   in Loop: Header=BB20_15 Depth=2
	s_or_b64 exec, exec, s[18:19]
	s_or_b64 exec, exec, s[16:17]
	s_and_saveexec_b64 s[16:17], vcc
	s_cbranch_execz .LBB20_17
.LBB20_21:                              ;   in Loop: Header=BB20_15 Depth=2
	s_waitcnt lgkmcnt(0)
	ds_read_b128 v[4:7], v39
	v_cmp_gt_u32_e64 s[4:5], s6, v40
	s_and_saveexec_b64 s[18:19], s[4:5]
	s_cbranch_execz .LBB20_23
; %bb.22:                               ;   in Loop: Header=BB20_15 Depth=2
	ds_read_b128 v[0:3], v39 offset:1024
.LBB20_23:                              ;   in Loop: Header=BB20_15 Depth=2
	s_or_b64 exec, exec, s[18:19]
	s_or_b64 exec, exec, s[16:17]
	s_and_saveexec_b64 s[4:5], vcc
	s_cbranch_execz .LBB20_14
.LBB20_24:                              ;   in Loop: Header=BB20_15 Depth=2
	s_waitcnt vmcnt(1) lgkmcnt(0)
	v_mfma_f32_4x4x4_16b_bf16 v[28:31], v[4:5], v[20:21], v[28:31]
	v_cmp_gt_u32_e32 vcc, s6, v40
	s_waitcnt vmcnt(0)
	v_mfma_f32_4x4x4_16b_bf16 v[24:27], v[4:5], v[12:13], v[24:27]
	v_mfma_f32_4x4x4_16b_bf16 v[28:31], v[6:7], v[22:23], v[28:31]
	s_nop 0
	v_mfma_f32_4x4x4_16b_bf16 v[24:27], v[6:7], v[14:15], v[24:27]
	s_and_saveexec_b64 s[16:17], vcc
	s_cbranch_execz .LBB20_13
; %bb.25:                               ;   in Loop: Header=BB20_15 Depth=2
	v_mfma_f32_4x4x4_16b_bf16 v[28:31], v[0:1], v[16:17], v[28:31]
	v_mfma_f32_4x4x4_16b_bf16 v[24:27], v[0:1], v[8:9], v[24:27]
	s_nop 0
	v_mfma_f32_4x4x4_16b_bf16 v[28:31], v[2:3], v[18:19], v[28:31]
	v_mfma_f32_4x4x4_16b_bf16 v[24:27], v[2:3], v[10:11], v[24:27]
	s_branch .LBB20_13
.LBB20_26:                              ;   in Loop: Header=BB20_11 Depth=1
	v_mov_b32_e32 v31, v35
	v_mov_b32_e32 v30, v35
	;; [unrolled: 1-line block ×8, first 2 shown]
.LBB20_27:                              ;   in Loop: Header=BB20_11 Depth=1
	;;#ASMSTART
	s_nop 0
	v_add_f32 v28, v29, v28 row_shl:1 bound_ctrl:0 
	;;#ASMEND
	;;#ASMSTART
	s_nop 0
	v_add_f32 v24, v25, v24 row_shl:1 bound_ctrl:0 
	;;#ASMEND
	s_nop 0
	;;#ASMSTART
	s_nop 0
	v_add_f32 v28, v30, v28 row_shl:2 bound_ctrl:0 
	;;#ASMEND
	;;#ASMSTART
	s_nop 0
	v_add_f32 v24, v26, v24 row_shl:2 bound_ctrl:0 
	;;#ASMEND
	s_nop 0
	;; [unrolled: 9-line block ×5, first 2 shown]
	;;#ASMSTART
	s_nop 0
	v_mov_b32 v28, v28 row_shr:15 bound_ctrl:0 
	;;#ASMEND
	;;#ASMSTART
	s_nop 0
	v_mov_b32 v24, v24 row_shr:15 bound_ctrl:0 
	;;#ASMEND
	s_nop 0
	;;#ASMSTART
	s_nop 0
	v_add_f32 v28, v28, v28 row_bcast:15 bound_ctrl:0
	;;#ASMEND
	;;#ASMSTART
	s_nop 0
	v_add_f32 v24, v24, v24 row_bcast:15 bound_ctrl:0
	;;#ASMEND
	s_nop 0
	;;#ASMSTART
	s_nop 0
	v_add_f32 v28, v28, v28 row_bcast:31 bound_ctrl:0
	;;#ASMEND
	;;#ASMSTART
	s_nop 0
	v_add_f32 v24, v24, v24 row_bcast:31 bound_ctrl:0
	;;#ASMEND
	s_and_saveexec_b64 s[4:5], s[0:1]
	s_cbranch_execz .LBB20_10
; %bb.28:                               ;   in Loop: Header=BB20_11 Depth=1
	v_and_b32_e32 v25, 0x7f800000, v28
	v_cmp_ne_u32_e32 vcc, s22, v25
                                        ; implicit-def: $vgpr25
	s_and_saveexec_b64 s[16:17], vcc
	s_xor_b64 s[16:17], exec, s[16:17]
; %bb.29:                               ;   in Loop: Header=BB20_11 Depth=1
	v_bfe_u32 v25, v28, 16, 1
	v_add3_u32 v25, v28, v25, s23
                                        ; implicit-def: $vgpr28
; %bb.30:                               ;   in Loop: Header=BB20_11 Depth=1
	s_andn2_saveexec_b64 s[16:17], s[16:17]
; %bb.31:                               ;   in Loop: Header=BB20_11 Depth=1
	v_or_b32_e32 v25, 0x10000, v28
	v_cmp_eq_u32_sdwa vcc, v28, v35 src0_sel:WORD_0 src1_sel:DWORD
	s_nop 1
	v_cndmask_b32_e32 v25, v25, v28, vcc
; %bb.32:                               ;   in Loop: Header=BB20_11 Depth=1
	s_or_b64 exec, exec, s[16:17]
	v_mov_b32_e32 v33, v35
	s_waitcnt lgkmcnt(0)
	v_lshl_add_u64 v[26:27], v[32:33], 1, s[10:11]
	global_store_short_d16_hi v[26:27], v25, off
	v_and_b32_e32 v25, 0x7f800000, v24
	v_cmp_ne_u32_e32 vcc, s22, v25
                                        ; implicit-def: $vgpr25
	s_and_saveexec_b64 s[16:17], vcc
	s_xor_b64 s[16:17], exec, s[16:17]
; %bb.33:                               ;   in Loop: Header=BB20_11 Depth=1
	v_bfe_u32 v25, v24, 16, 1
	v_add3_u32 v25, v24, v25, s23
                                        ; implicit-def: $vgpr24
; %bb.34:                               ;   in Loop: Header=BB20_11 Depth=1
	s_andn2_saveexec_b64 s[16:17], s[16:17]
	s_cbranch_execz .LBB20_9
; %bb.35:                               ;   in Loop: Header=BB20_11 Depth=1
	v_or_b32_e32 v25, 0x10000, v24
	v_cmp_eq_u32_sdwa vcc, v24, v35 src0_sel:WORD_0 src1_sel:DWORD
	s_nop 1
	v_cndmask_b32_e32 v25, v25, v24, vcc
	s_branch .LBB20_9
.LBB20_36:
	s_endpgm
	.section	.rodata,"a",@progbits
	.p2align	6, 0x0
	.amdhsa_kernel _Z16wvSplitK_hf_sml_I14__hip_bfloat16Li64ELi2ELi16ELi8ELi2ELi1EEviiPKT_S3_PS1_ii
		.amdhsa_group_segment_fixed_size 65536
		.amdhsa_private_segment_fixed_size 0
		.amdhsa_kernarg_size 40
		.amdhsa_user_sgpr_count 2
		.amdhsa_user_sgpr_dispatch_ptr 0
		.amdhsa_user_sgpr_queue_ptr 0
		.amdhsa_user_sgpr_kernarg_segment_ptr 1
		.amdhsa_user_sgpr_dispatch_id 0
		.amdhsa_user_sgpr_kernarg_preload_length 0
		.amdhsa_user_sgpr_kernarg_preload_offset 0
		.amdhsa_user_sgpr_private_segment_size 0
		.amdhsa_uses_dynamic_stack 0
		.amdhsa_enable_private_segment 0
		.amdhsa_system_sgpr_workgroup_id_x 1
		.amdhsa_system_sgpr_workgroup_id_y 0
		.amdhsa_system_sgpr_workgroup_id_z 0
		.amdhsa_system_sgpr_workgroup_info 0
		.amdhsa_system_vgpr_workitem_id 1
		.amdhsa_next_free_vgpr 46
		.amdhsa_next_free_sgpr 25
		.amdhsa_accum_offset 48
		.amdhsa_reserve_vcc 1
		.amdhsa_float_round_mode_32 0
		.amdhsa_float_round_mode_16_64 0
		.amdhsa_float_denorm_mode_32 3
		.amdhsa_float_denorm_mode_16_64 3
		.amdhsa_dx10_clamp 1
		.amdhsa_ieee_mode 1
		.amdhsa_fp16_overflow 0
		.amdhsa_tg_split 0
		.amdhsa_exception_fp_ieee_invalid_op 0
		.amdhsa_exception_fp_denorm_src 0
		.amdhsa_exception_fp_ieee_div_zero 0
		.amdhsa_exception_fp_ieee_overflow 0
		.amdhsa_exception_fp_ieee_underflow 0
		.amdhsa_exception_fp_ieee_inexact 0
		.amdhsa_exception_int_div_zero 0
	.end_amdhsa_kernel
	.section	.text._Z16wvSplitK_hf_sml_I14__hip_bfloat16Li64ELi2ELi16ELi8ELi2ELi1EEviiPKT_S3_PS1_ii,"axG",@progbits,_Z16wvSplitK_hf_sml_I14__hip_bfloat16Li64ELi2ELi16ELi8ELi2ELi1EEviiPKT_S3_PS1_ii,comdat
.Lfunc_end20:
	.size	_Z16wvSplitK_hf_sml_I14__hip_bfloat16Li64ELi2ELi16ELi8ELi2ELi1EEviiPKT_S3_PS1_ii, .Lfunc_end20-_Z16wvSplitK_hf_sml_I14__hip_bfloat16Li64ELi2ELi16ELi8ELi2ELi1EEviiPKT_S3_PS1_ii
                                        ; -- End function
	.section	.AMDGPU.csdata,"",@progbits
; Kernel info:
; codeLenInByte = 1296
; NumSgprs: 31
; NumVgprs: 46
; NumAgprs: 0
; TotalNumVgprs: 46
; ScratchSize: 0
; MemoryBound: 0
; FloatMode: 240
; IeeeMode: 1
; LDSByteSize: 65536 bytes/workgroup (compile time only)
; SGPRBlocks: 3
; VGPRBlocks: 5
; NumSGPRsForWavesPerEU: 31
; NumVGPRsForWavesPerEU: 46
; AccumOffset: 48
; Occupancy: 4
; WaveLimiterHint : 0
; COMPUTE_PGM_RSRC2:SCRATCH_EN: 0
; COMPUTE_PGM_RSRC2:USER_SGPR: 2
; COMPUTE_PGM_RSRC2:TRAP_HANDLER: 0
; COMPUTE_PGM_RSRC2:TGID_X_EN: 1
; COMPUTE_PGM_RSRC2:TGID_Y_EN: 0
; COMPUTE_PGM_RSRC2:TGID_Z_EN: 0
; COMPUTE_PGM_RSRC2:TIDIG_COMP_CNT: 1
; COMPUTE_PGM_RSRC3_GFX90A:ACCUM_OFFSET: 11
; COMPUTE_PGM_RSRC3_GFX90A:TG_SPLIT: 0
	.section	.text._Z12wvSplitK_hf_I14__hip_bfloat16Li64ELi2ELi16ELi8ELi2ELi1EEviiPKT_S3_PS1_ii,"axG",@progbits,_Z12wvSplitK_hf_I14__hip_bfloat16Li64ELi2ELi16ELi8ELi2ELi1EEviiPKT_S3_PS1_ii,comdat
	.protected	_Z12wvSplitK_hf_I14__hip_bfloat16Li64ELi2ELi16ELi8ELi2ELi1EEviiPKT_S3_PS1_ii ; -- Begin function _Z12wvSplitK_hf_I14__hip_bfloat16Li64ELi2ELi16ELi8ELi2ELi1EEviiPKT_S3_PS1_ii
	.globl	_Z12wvSplitK_hf_I14__hip_bfloat16Li64ELi2ELi16ELi8ELi2ELi1EEviiPKT_S3_PS1_ii
	.p2align	8
	.type	_Z12wvSplitK_hf_I14__hip_bfloat16Li64ELi2ELi16ELi8ELi2ELi1EEviiPKT_S3_PS1_ii,@function
_Z12wvSplitK_hf_I14__hip_bfloat16Li64ELi2ELi16ELi8ELi2ELi1EEviiPKT_S3_PS1_ii: ; @_Z12wvSplitK_hf_I14__hip_bfloat16Li64ELi2ELi16ELi8ELi2ELi1EEviiPKT_S3_PS1_ii
; %bb.0:
	s_load_dwordx2 s[6:7], s[0:1], 0x0
	s_load_dwordx2 s[8:9], s[0:1], 0x10
	v_and_b32_e32 v2, 0x3ff, v0
	v_bfe_u32 v3, v0, 10, 10
	v_lshlrev_b32_e32 v32, 3, v2
	s_waitcnt lgkmcnt(0)
	s_cmp_lg_u32 s6, 0
	s_mov_b32 s3, 0
	s_cselect_b64 s[4:5], -1, 0
	s_cmp_eq_u32 s6, 0
	v_lshlrev_b32_e32 v33, 4, v2
	s_cbranch_scc1 .LBB21_6
; %bb.1:
	v_lshlrev_b32_e32 v0, 4, v2
	s_min_i32 s16, s6, 0x8000
	v_lshl_add_u32 v4, v3, 10, v0
	v_lshl_add_u32 v5, v3, 9, v32
	s_mov_b64 s[10:11], 0
	v_mov_b32_e32 v1, 0
                                        ; implicit-def: $sgpr12_sgpr13
	s_branch .LBB21_3
.LBB21_2:                               ;   in Loop: Header=BB21_3 Depth=1
	s_or_b64 exec, exec, s[14:15]
	s_and_b64 s[14:15], exec, s[12:13]
	s_or_b64 s[10:11], s[14:15], s[10:11]
	s_andn2_b64 exec, exec, s[10:11]
	s_cbranch_execz .LBB21_5
.LBB21_3:                               ; =>This Inner Loop Header: Depth=1
	v_add_u32_e32 v0, s3, v5
	v_cmp_gt_u32_e32 vcc, s16, v0
	s_or_b64 s[12:13], s[12:13], exec
	s_and_saveexec_b64 s[14:15], vcc
	s_cbranch_execz .LBB21_2
; %bb.4:                                ;   in Loop: Header=BB21_3 Depth=1
	v_lshl_add_u64 v[6:7], v[0:1], 1, s[8:9]
	global_load_dwordx4 v[6:9], v[6:7], off
	s_addk_i32 s3, 0x2000
	s_cmp_ge_u32 s3, s16
	s_cselect_b64 s[18:19], -1, 0
	s_andn2_b64 s[12:13], s[12:13], exec
	s_and_b64 s[18:19], s[18:19], exec
	s_or_b64 s[12:13], s[12:13], s[18:19]
	s_waitcnt vmcnt(0)
	ds_write_b128 v4, v[6:9]
	v_add_u32_e32 v4, 0x4000, v4
	s_branch .LBB21_2
.LBB21_5:
	s_or_b64 exec, exec, s[10:11]
.LBB21_6:
	s_load_dwordx2 s[14:15], s[0:1], 0x20
	s_add_i32 s22, s7, -2
	v_mov_b32_e32 v0, s22
	s_waitcnt lgkmcnt(0)
	s_barrier
	s_mul_i32 s2, s2, s14
	v_add_lshl_u32 v1, s2, v3, 1
	v_add_u32_e32 v4, 2, v1
	v_cmp_le_u32_e32 vcc, s7, v1
	v_cmp_gt_u32_e64 s[2:3], s7, v4
	s_or_b64 vcc, vcc, s[2:3]
	v_cndmask_b32_e32 v34, v0, v1, vcc
	v_cmp_gt_u32_e32 vcc, s14, v3
	v_cmp_gt_u32_e64 s[2:3], s7, v34
	s_and_b64 s[2:3], vcc, s[2:3]
	s_and_saveexec_b64 s[10:11], s[2:3]
	s_cbranch_execz .LBB21_43
; %bb.7:
	s_load_dwordx2 s[10:11], s[0:1], 0x8
	s_load_dwordx2 s[12:13], s[0:1], 0x18
	s_mul_i32 s2, s14, s15
	v_cndmask_b32_e64 v0, 0, 1, s[4:5]
	v_cmp_eq_u32_e64 s[0:1], 63, v2
	s_lshl_b32 s23, s2, 1
	s_ashr_i32 s15, s6, 31
	s_mov_b32 s14, s6
	s_mov_b64 s[16:17], 0
	v_cmp_ne_u32_e64 s[2:3], 1, v0
	v_mov_b32_e32 v37, 0
	s_movk_i32 s24, 0x7fff
	s_mov_b32 s25, 0x7f800000
                                        ; implicit-def: $vgpr6_vgpr7
                                        ; implicit-def: $vgpr2_vgpr3
                                        ; implicit-def: $vgpr8_vgpr9_vgpr10_vgpr11
                                        ; implicit-def: $vgpr12_vgpr13_vgpr14_vgpr15
                                        ; implicit-def: $vgpr16_vgpr17_vgpr18_vgpr19
                                        ; implicit-def: $vgpr20_vgpr21_vgpr22_vgpr23
	s_branch .LBB21_10
.LBB21_8:                               ;   in Loop: Header=BB21_10 Depth=1
	s_or_b64 exec, exec, s[18:19]
	v_add_u32_e32 v36, 1, v34
	v_lshl_add_u64 v[26:27], v[36:37], 1, s[12:13]
	global_store_short_d16_hi v[26:27], v25, off
.LBB21_9:                               ;   in Loop: Header=BB21_10 Depth=1
	s_or_b64 exec, exec, s[4:5]
	v_add_u32_e32 v24, s23, v34
	v_add_u32_e32 v25, 2, v24
	v_cmp_le_u32_e32 vcc, s7, v24
	v_cmp_gt_u32_e64 s[4:5], s7, v25
	v_mov_b32_e32 v25, s22
	s_or_b64 vcc, vcc, s[4:5]
	v_cndmask_b32_e32 v34, v25, v24, vcc
	v_cmp_le_u32_e32 vcc, s7, v34
	s_or_b64 s[16:17], vcc, s[16:17]
	s_andn2_b64 exec, exec, s[16:17]
	s_cbranch_execz .LBB21_43
.LBB21_10:                              ; =>This Loop Header: Depth=1
                                        ;     Child Loop BB21_14 Depth 2
	s_and_b64 vcc, exec, s[2:3]
	s_cbranch_vccnz .LBB21_33
; %bb.11:                               ;   in Loop: Header=BB21_10 Depth=1
	v_mov_b32_e32 v24, 0
	v_mad_u64_u32 v[38:39], s[4:5], v34, s6, v[32:33]
	s_mov_b32 s26, 0
	v_mov_b32_e32 v35, v33
	v_mov_b32_e32 v25, v24
	;; [unrolled: 1-line block ×8, first 2 shown]
	s_branch .LBB21_14
.LBB21_12:                              ;   in Loop: Header=BB21_14 Depth=2
	s_or_b64 exec, exec, s[18:19]
.LBB21_13:                              ;   in Loop: Header=BB21_14 Depth=2
	s_or_b64 exec, exec, s[4:5]
	s_addk_i32 s26, 0x400
	s_cmp_ge_u32 s26, s6
	v_add_u32_e32 v35, 0x800, v35
	s_cbranch_scc1 .LBB21_34
.LBB21_14:                              ;   Parent Loop BB21_10 Depth=1
                                        ; =>  This Inner Loop Header: Depth=2
	v_add_u32_e32 v42, s26, v32
	v_cmp_gt_u32_e32 vcc, s6, v42
	v_add_u32_e32 v40, 0x200, v42
	s_and_saveexec_b64 s[18:19], vcc
	s_cbranch_execnz .LBB21_17
; %bb.15:                               ;   in Loop: Header=BB21_14 Depth=2
	s_or_b64 exec, exec, s[18:19]
	s_and_saveexec_b64 s[18:19], vcc
	s_cbranch_execnz .LBB21_20
.LBB21_16:                              ;   in Loop: Header=BB21_14 Depth=2
	s_or_b64 exec, exec, s[18:19]
	s_and_saveexec_b64 s[4:5], vcc
	s_cbranch_execz .LBB21_13
	s_branch .LBB21_31
.LBB21_17:                              ;   in Loop: Header=BB21_14 Depth=2
	v_add_u32_e32 v36, s26, v38
	s_waitcnt lgkmcnt(0)
	v_lshl_add_u64 v[44:45], v[36:37], 1, s[10:11]
	v_lshl_add_u64 v[46:47], s[14:15], 1, v[44:45]
	global_load_dwordx4 v[20:23], v[44:45], off nt
	global_load_dwordx4 v[12:15], v[46:47], off nt
	v_cmp_gt_u32_e64 s[4:5], s6, v40
	s_and_saveexec_b64 s[20:21], s[4:5]
	s_cbranch_execz .LBB21_19
; %bb.18:                               ;   in Loop: Header=BB21_14 Depth=2
	v_add_u32_e32 v36, 0x200, v36
	v_lshl_add_u64 v[44:45], v[36:37], 1, s[10:11]
	v_lshl_add_u64 v[46:47], s[14:15], 1, v[44:45]
	global_load_dwordx4 v[16:19], v[44:45], off nt
	global_load_dwordx4 v[8:11], v[46:47], off nt
.LBB21_19:                              ;   in Loop: Header=BB21_14 Depth=2
	s_or_b64 exec, exec, s[20:21]
	s_or_b64 exec, exec, s[18:19]
	s_and_saveexec_b64 s[18:19], vcc
	s_cbranch_execz .LBB21_16
.LBB21_20:                              ;   in Loop: Header=BB21_14 Depth=2
	v_cmp_lt_u32_e64 s[4:5], s24, v42
                                        ; implicit-def: $vgpr0_vgpr1
	s_and_saveexec_b64 s[20:21], s[4:5]
	s_xor_b64 s[4:5], exec, s[20:21]
	s_cbranch_execnz .LBB21_23
; %bb.21:                               ;   in Loop: Header=BB21_14 Depth=2
	s_andn2_saveexec_b64 s[4:5], s[4:5]
	s_cbranch_execnz .LBB21_24
.LBB21_22:                              ;   in Loop: Header=BB21_14 Depth=2
	s_or_b64 exec, exec, s[4:5]
	v_cmp_gt_u32_e64 s[4:5], s6, v40
	s_and_saveexec_b64 s[20:21], s[4:5]
	s_cbranch_execnz .LBB21_25
	s_branch .LBB21_30
.LBB21_23:                              ;   in Loop: Header=BB21_14 Depth=2
	v_mov_b32_e32 v43, v37
	s_waitcnt vmcnt(0) lgkmcnt(0)
	v_lshl_add_u64 v[0:1], v[42:43], 1, s[8:9]
	global_load_dwordx4 v[0:3], v[0:1], off
	s_andn2_saveexec_b64 s[4:5], s[4:5]
	s_cbranch_execz .LBB21_22
.LBB21_24:                              ;   in Loop: Header=BB21_14 Depth=2
	s_waitcnt vmcnt(0) lgkmcnt(0)
	ds_read_b128 v[0:3], v35
	s_or_b64 exec, exec, s[4:5]
	v_cmp_gt_u32_e64 s[4:5], s6, v40
	s_and_saveexec_b64 s[20:21], s[4:5]
	s_cbranch_execz .LBB21_30
.LBB21_25:                              ;   in Loop: Header=BB21_14 Depth=2
	v_cmp_lt_u32_e64 s[4:5], s24, v40
                                        ; implicit-def: $vgpr4_vgpr5
	s_and_saveexec_b64 s[28:29], s[4:5]
	s_xor_b64 s[4:5], exec, s[28:29]
	s_cbranch_execz .LBB21_27
; %bb.26:                               ;   in Loop: Header=BB21_14 Depth=2
	v_mov_b32_e32 v41, v37
	s_waitcnt vmcnt(0) lgkmcnt(0)
	v_lshl_add_u64 v[4:5], v[40:41], 1, s[8:9]
	global_load_dwordx4 v[4:7], v[4:5], off
.LBB21_27:                              ;   in Loop: Header=BB21_14 Depth=2
	s_andn2_saveexec_b64 s[4:5], s[4:5]
	s_cbranch_execz .LBB21_29
; %bb.28:                               ;   in Loop: Header=BB21_14 Depth=2
	s_waitcnt vmcnt(0) lgkmcnt(0)
	ds_read_b128 v[4:7], v35 offset:1024
.LBB21_29:                              ;   in Loop: Header=BB21_14 Depth=2
	s_or_b64 exec, exec, s[4:5]
.LBB21_30:                              ;   in Loop: Header=BB21_14 Depth=2
	s_or_b64 exec, exec, s[20:21]
	s_or_b64 exec, exec, s[18:19]
	s_and_saveexec_b64 s[4:5], vcc
	s_cbranch_execz .LBB21_13
.LBB21_31:                              ;   in Loop: Header=BB21_14 Depth=2
	s_waitcnt vmcnt(0) lgkmcnt(0)
	v_mfma_f32_4x4x4_16b_bf16 v[28:31], v[0:1], v[20:21], v[28:31]
	v_cmp_gt_u32_e32 vcc, s6, v40
	v_mfma_f32_4x4x4_16b_bf16 v[24:27], v[0:1], v[12:13], v[24:27]
	v_mfma_f32_4x4x4_16b_bf16 v[28:31], v[2:3], v[22:23], v[28:31]
	s_nop 0
	v_mfma_f32_4x4x4_16b_bf16 v[24:27], v[2:3], v[14:15], v[24:27]
	s_and_saveexec_b64 s[18:19], vcc
	s_cbranch_execz .LBB21_12
; %bb.32:                               ;   in Loop: Header=BB21_14 Depth=2
	v_mfma_f32_4x4x4_16b_bf16 v[28:31], v[4:5], v[16:17], v[28:31]
	v_mfma_f32_4x4x4_16b_bf16 v[24:27], v[4:5], v[8:9], v[24:27]
	s_nop 0
	v_mfma_f32_4x4x4_16b_bf16 v[28:31], v[6:7], v[18:19], v[28:31]
	v_mfma_f32_4x4x4_16b_bf16 v[24:27], v[6:7], v[10:11], v[24:27]
	s_branch .LBB21_12
.LBB21_33:                              ;   in Loop: Header=BB21_10 Depth=1
	v_mov_b32_e32 v31, v37
	v_mov_b32_e32 v30, v37
	;; [unrolled: 1-line block ×8, first 2 shown]
.LBB21_34:                              ;   in Loop: Header=BB21_10 Depth=1
	;;#ASMSTART
	s_nop 0
	v_add_f32 v28, v29, v28 row_shl:1 bound_ctrl:0 
	;;#ASMEND
	;;#ASMSTART
	s_nop 0
	v_add_f32 v24, v25, v24 row_shl:1 bound_ctrl:0 
	;;#ASMEND
	s_nop 0
	;;#ASMSTART
	s_nop 0
	v_add_f32 v28, v30, v28 row_shl:2 bound_ctrl:0 
	;;#ASMEND
	;;#ASMSTART
	s_nop 0
	v_add_f32 v24, v26, v24 row_shl:2 bound_ctrl:0 
	;;#ASMEND
	s_nop 0
	;;#ASMSTART
	s_nop 0
	v_add_f32 v28, v31, v28 row_shl:3 bound_ctrl:0 
	;;#ASMEND
	;;#ASMSTART
	s_nop 0
	v_add_f32 v24, v27, v24 row_shl:3 bound_ctrl:0 
	;;#ASMEND
	s_nop 0
	;;#ASMSTART
	s_nop 0
	v_add_f32 v28, v28, v28 row_shl:4 bound_ctrl:0 
	;;#ASMEND
	;;#ASMSTART
	s_nop 0
	v_add_f32 v24, v24, v24 row_shl:4 bound_ctrl:0 
	;;#ASMEND
	s_nop 0
	;;#ASMSTART
	s_nop 0
	v_add_f32 v28, v28, v28 row_shl:8 bound_ctrl:0 
	;;#ASMEND
	;;#ASMSTART
	s_nop 0
	v_add_f32 v24, v24, v24 row_shl:8 bound_ctrl:0 
	;;#ASMEND
	s_nop 0
	;;#ASMSTART
	s_nop 0
	v_mov_b32 v28, v28 row_shr:15 bound_ctrl:0 
	;;#ASMEND
	;;#ASMSTART
	s_nop 0
	v_mov_b32 v24, v24 row_shr:15 bound_ctrl:0 
	;;#ASMEND
	s_nop 0
	;;#ASMSTART
	s_nop 0
	v_add_f32 v28, v28, v28 row_bcast:15 bound_ctrl:0
	;;#ASMEND
	;;#ASMSTART
	s_nop 0
	v_add_f32 v24, v24, v24 row_bcast:15 bound_ctrl:0
	;;#ASMEND
	s_nop 0
	;;#ASMSTART
	s_nop 0
	v_add_f32 v28, v28, v28 row_bcast:31 bound_ctrl:0
	;;#ASMEND
	;;#ASMSTART
	s_nop 0
	v_add_f32 v24, v24, v24 row_bcast:31 bound_ctrl:0
	;;#ASMEND
	s_and_saveexec_b64 s[4:5], s[0:1]
	s_cbranch_execz .LBB21_9
; %bb.35:                               ;   in Loop: Header=BB21_10 Depth=1
	v_and_b32_e32 v25, 0x7f800000, v28
	v_cmp_ne_u32_e32 vcc, s25, v25
                                        ; implicit-def: $vgpr25
	s_and_saveexec_b64 s[18:19], vcc
	s_xor_b64 s[18:19], exec, s[18:19]
; %bb.36:                               ;   in Loop: Header=BB21_10 Depth=1
	v_bfe_u32 v25, v28, 16, 1
	v_add3_u32 v25, v28, v25, s24
                                        ; implicit-def: $vgpr28
; %bb.37:                               ;   in Loop: Header=BB21_10 Depth=1
	s_andn2_saveexec_b64 s[18:19], s[18:19]
; %bb.38:                               ;   in Loop: Header=BB21_10 Depth=1
	v_or_b32_e32 v25, 0x10000, v28
	v_cmp_eq_u32_sdwa vcc, v28, v37 src0_sel:WORD_0 src1_sel:DWORD
	s_nop 1
	v_cndmask_b32_e32 v25, v25, v28, vcc
; %bb.39:                               ;   in Loop: Header=BB21_10 Depth=1
	s_or_b64 exec, exec, s[18:19]
	v_mov_b32_e32 v35, v37
	s_waitcnt lgkmcnt(0)
	v_lshl_add_u64 v[26:27], v[34:35], 1, s[12:13]
	global_store_short_d16_hi v[26:27], v25, off
	v_and_b32_e32 v25, 0x7f800000, v24
	v_cmp_ne_u32_e32 vcc, s25, v25
                                        ; implicit-def: $vgpr25
	s_and_saveexec_b64 s[18:19], vcc
	s_xor_b64 s[18:19], exec, s[18:19]
; %bb.40:                               ;   in Loop: Header=BB21_10 Depth=1
	v_bfe_u32 v25, v24, 16, 1
	v_add3_u32 v25, v24, v25, s24
                                        ; implicit-def: $vgpr24
; %bb.41:                               ;   in Loop: Header=BB21_10 Depth=1
	s_andn2_saveexec_b64 s[18:19], s[18:19]
	s_cbranch_execz .LBB21_8
; %bb.42:                               ;   in Loop: Header=BB21_10 Depth=1
	v_or_b32_e32 v25, 0x10000, v24
	v_cmp_eq_u32_sdwa vcc, v24, v37 src0_sel:WORD_0 src1_sel:DWORD
	s_nop 1
	v_cndmask_b32_e32 v25, v25, v24, vcc
	s_branch .LBB21_8
.LBB21_43:
	s_endpgm
	.section	.rodata,"a",@progbits
	.p2align	6, 0x0
	.amdhsa_kernel _Z12wvSplitK_hf_I14__hip_bfloat16Li64ELi2ELi16ELi8ELi2ELi1EEviiPKT_S3_PS1_ii
		.amdhsa_group_segment_fixed_size 65536
		.amdhsa_private_segment_fixed_size 0
		.amdhsa_kernarg_size 40
		.amdhsa_user_sgpr_count 2
		.amdhsa_user_sgpr_dispatch_ptr 0
		.amdhsa_user_sgpr_queue_ptr 0
		.amdhsa_user_sgpr_kernarg_segment_ptr 1
		.amdhsa_user_sgpr_dispatch_id 0
		.amdhsa_user_sgpr_kernarg_preload_length 0
		.amdhsa_user_sgpr_kernarg_preload_offset 0
		.amdhsa_user_sgpr_private_segment_size 0
		.amdhsa_uses_dynamic_stack 0
		.amdhsa_enable_private_segment 0
		.amdhsa_system_sgpr_workgroup_id_x 1
		.amdhsa_system_sgpr_workgroup_id_y 0
		.amdhsa_system_sgpr_workgroup_id_z 0
		.amdhsa_system_sgpr_workgroup_info 0
		.amdhsa_system_vgpr_workitem_id 1
		.amdhsa_next_free_vgpr 48
		.amdhsa_next_free_sgpr 30
		.amdhsa_accum_offset 48
		.amdhsa_reserve_vcc 1
		.amdhsa_float_round_mode_32 0
		.amdhsa_float_round_mode_16_64 0
		.amdhsa_float_denorm_mode_32 3
		.amdhsa_float_denorm_mode_16_64 3
		.amdhsa_dx10_clamp 1
		.amdhsa_ieee_mode 1
		.amdhsa_fp16_overflow 0
		.amdhsa_tg_split 0
		.amdhsa_exception_fp_ieee_invalid_op 0
		.amdhsa_exception_fp_denorm_src 0
		.amdhsa_exception_fp_ieee_div_zero 0
		.amdhsa_exception_fp_ieee_overflow 0
		.amdhsa_exception_fp_ieee_underflow 0
		.amdhsa_exception_fp_ieee_inexact 0
		.amdhsa_exception_int_div_zero 0
	.end_amdhsa_kernel
	.section	.text._Z12wvSplitK_hf_I14__hip_bfloat16Li64ELi2ELi16ELi8ELi2ELi1EEviiPKT_S3_PS1_ii,"axG",@progbits,_Z12wvSplitK_hf_I14__hip_bfloat16Li64ELi2ELi16ELi8ELi2ELi1EEviiPKT_S3_PS1_ii,comdat
.Lfunc_end21:
	.size	_Z12wvSplitK_hf_I14__hip_bfloat16Li64ELi2ELi16ELi8ELi2ELi1EEviiPKT_S3_PS1_ii, .Lfunc_end21-_Z12wvSplitK_hf_I14__hip_bfloat16Li64ELi2ELi16ELi8ELi2ELi1EEviiPKT_S3_PS1_ii
                                        ; -- End function
	.section	.AMDGPU.csdata,"",@progbits
; Kernel info:
; codeLenInByte = 1488
; NumSgprs: 36
; NumVgprs: 48
; NumAgprs: 0
; TotalNumVgprs: 48
; ScratchSize: 0
; MemoryBound: 1
; FloatMode: 240
; IeeeMode: 1
; LDSByteSize: 65536 bytes/workgroup (compile time only)
; SGPRBlocks: 4
; VGPRBlocks: 5
; NumSGPRsForWavesPerEU: 36
; NumVGPRsForWavesPerEU: 48
; AccumOffset: 48
; Occupancy: 4
; WaveLimiterHint : 0
; COMPUTE_PGM_RSRC2:SCRATCH_EN: 0
; COMPUTE_PGM_RSRC2:USER_SGPR: 2
; COMPUTE_PGM_RSRC2:TRAP_HANDLER: 0
; COMPUTE_PGM_RSRC2:TGID_X_EN: 1
; COMPUTE_PGM_RSRC2:TGID_Y_EN: 0
; COMPUTE_PGM_RSRC2:TGID_Z_EN: 0
; COMPUTE_PGM_RSRC2:TIDIG_COMP_CNT: 1
; COMPUTE_PGM_RSRC3_GFX90A:ACCUM_OFFSET: 11
; COMPUTE_PGM_RSRC3_GFX90A:TG_SPLIT: 0
	.section	.text._Z16wvSplitK_hf_big_I14__hip_bfloat16Li64ELi2ELi16ELi8ELi2ELi1EEviiPKT_S3_PS1_ii,"axG",@progbits,_Z16wvSplitK_hf_big_I14__hip_bfloat16Li64ELi2ELi16ELi8ELi2ELi1EEviiPKT_S3_PS1_ii,comdat
	.protected	_Z16wvSplitK_hf_big_I14__hip_bfloat16Li64ELi2ELi16ELi8ELi2ELi1EEviiPKT_S3_PS1_ii ; -- Begin function _Z16wvSplitK_hf_big_I14__hip_bfloat16Li64ELi2ELi16ELi8ELi2ELi1EEviiPKT_S3_PS1_ii
	.globl	_Z16wvSplitK_hf_big_I14__hip_bfloat16Li64ELi2ELi16ELi8ELi2ELi1EEviiPKT_S3_PS1_ii
	.p2align	8
	.type	_Z16wvSplitK_hf_big_I14__hip_bfloat16Li64ELi2ELi16ELi8ELi2ELi1EEviiPKT_S3_PS1_ii,@function
_Z16wvSplitK_hf_big_I14__hip_bfloat16Li64ELi2ELi16ELi8ELi2ELi1EEviiPKT_S3_PS1_ii: ; @_Z16wvSplitK_hf_big_I14__hip_bfloat16Li64ELi2ELi16ELi8ELi2ELi1EEviiPKT_S3_PS1_ii
; %bb.0:
	s_load_dwordx2 s[4:5], s[0:1], 0x20
	v_bfe_u32 v1, v0, 10, 10
	s_waitcnt lgkmcnt(0)
	v_cmp_gt_u32_e32 vcc, s4, v1
	s_and_saveexec_b64 s[6:7], vcc
	s_cbranch_execz .LBB22_44
; %bb.1:
	s_lshl_b32 s6, s4, 1
	s_abs_i32 s7, s6
	v_cvt_f32_u32_e32 v3, s7
	s_load_dwordx2 s[10:11], s[0:1], 0x0
	s_mul_i32 s2, s2, s4
	v_add_lshl_u32 v2, s2, v1, 1
	v_rcp_iflag_f32_e32 v3, v3
	v_add_u32_e32 v4, 2, v2
	s_waitcnt lgkmcnt(0)
	v_cmp_le_u32_e32 vcc, s11, v2
	v_cmp_gt_u32_e64 s[2:3], s11, v4
	s_add_i32 s28, s11, -2
	v_mov_b32_e32 v4, s28
	s_or_b64 vcc, vcc, s[2:3]
	v_cndmask_b32_e32 v32, v4, v2, vcc
	v_mul_f32_e32 v2, 0x4f7ffffe, v3
	v_cvt_u32_f32_e32 v2, v2
	s_sub_i32 s8, 0, s7
	s_abs_i32 s3, s11
	s_ashr_i32 s2, s11, 31
	v_readfirstlane_b32 s9, v2
	s_mul_i32 s8, s8, s9
	s_mul_hi_u32 s8, s9, s8
	s_add_i32 s9, s9, s8
	s_mul_hi_u32 s8, s3, s9
	s_mul_i32 s8, s8, s7
	s_sub_i32 s3, s3, s8
	s_sub_i32 s8, s3, s7
	s_cmp_ge_u32 s3, s7
	s_cselect_b32 s3, s8, s3
	s_sub_i32 s8, s3, s7
	s_cmp_ge_u32 s3, s7
	s_cselect_b32 s3, s8, s3
	s_xor_b32 s3, s3, s2
	s_sub_i32 s2, s3, s2
	s_add_i32 s6, s6, s11
	s_sub_i32 s3, s6, s2
	s_cmp_eq_u32 s2, 0
	s_cselect_b32 s29, s11, s3
	v_cmp_gt_u32_e32 vcc, s29, v32
	s_and_b64 exec, exec, vcc
	s_cbranch_execz .LBB22_44
; %bb.2:
	s_mov_b32 s2, 0
	v_cvt_f64_i32_e32 v[2:3], s10
	s_mov_b32 s3, 0x40e00000
	v_min_f64 v[2:3], v[2:3], s[2:3]
	s_load_dwordx4 s[12:15], s[0:1], 0x8
	s_load_dwordx2 s[16:17], s[0:1], 0x18
	s_cmp_lg_u32 s10, 0
	v_and_b32_e32 v0, 0x3ff, v0
	s_mul_i32 s0, s5, s4
	v_cvt_u32_f64_e32 v2, v[2:3]
	v_lshlrev_b32_e32 v36, 3, v0
	s_cselect_b64 s[2:3], -1, 0
	s_lshl_b32 s33, s0, 1
	v_cmp_eq_u32_e64 s[0:1], 63, v0
	v_lshlrev_b32_e32 v0, 4, v0
	v_lshl_add_u32 v37, v1, 10, v0
	v_cndmask_b32_e64 v0, 0, 1, s[2:3]
	v_cmp_ne_u32_e32 vcc, 0, v2
	v_cmp_ne_u32_e64 s[2:3], 1, v0
	v_readfirstlane_b32 s30, v2
	v_cndmask_b32_e64 v0, 0, 1, vcc
	s_lshl_b32 s31, s4, 9
	s_ashr_i32 s19, s10, 31
	s_mov_b32 s18, s10
	s_lshl_b32 s34, s4, 10
	v_lshl_add_u32 v38, v1, 9, v36
	s_mov_b64 s[20:21], 0
	v_cmp_ne_u32_e64 s[4:5], 1, v0
	v_mov_b32_e32 v35, 0
	s_mov_b32 s35, 0x7f800000
	s_movk_i32 s36, 0x7fff
                                        ; implicit-def: $vgpr2_vgpr3
                                        ; implicit-def: $vgpr6_vgpr7
                                        ; implicit-def: $vgpr8_vgpr9_vgpr10_vgpr11
                                        ; implicit-def: $vgpr16_vgpr17_vgpr18_vgpr19
                                        ; implicit-def: $vgpr12_vgpr13_vgpr14_vgpr15
                                        ; implicit-def: $vgpr20_vgpr21_vgpr22_vgpr23
	s_branch .LBB22_6
.LBB22_3:                               ;   in Loop: Header=BB22_6 Depth=1
	s_or_b64 exec, exec, s[22:23]
	global_store_short_d16_hi v[26:27], v25, off offset:2
.LBB22_4:                               ;   in Loop: Header=BB22_6 Depth=1
	s_or_b64 exec, exec, s[6:7]
	v_add_u32_e32 v24, s33, v32
	v_add_u32_e32 v25, 2, v24
	v_cmp_le_u32_e32 vcc, s11, v24
	v_cmp_gt_u32_e64 s[6:7], s11, v25
	v_mov_b32_e32 v25, s28
	s_or_b64 vcc, vcc, s[6:7]
	v_cndmask_b32_e32 v32, v25, v24, vcc
.LBB22_5:                               ;   in Loop: Header=BB22_6 Depth=1
	s_or_b64 exec, exec, s[8:9]
	v_cmp_le_u32_e32 vcc, s29, v32
	s_or_b64 s[20:21], vcc, s[20:21]
	s_andn2_b64 exec, exec, s[20:21]
	s_cbranch_execz .LBB22_44
.LBB22_6:                               ; =>This Loop Header: Depth=1
                                        ;     Child Loop BB22_11 Depth 2
                                        ;       Child Loop BB22_15 Depth 3
	s_and_b64 vcc, exec, s[2:3]
	s_cbranch_vccnz .LBB22_31
; %bb.7:                                ;   in Loop: Header=BB22_6 Depth=1
	v_mov_b32_e32 v24, 0
	v_cmp_gt_u32_e64 s[6:7], s11, v32
	v_mul_lo_u32 v33, v32, s10
	s_mov_b32 s37, 0
	s_mov_b32 s38, 0
	v_mov_b32_e32 v25, v24
	v_mov_b32_e32 v26, v24
	;; [unrolled: 1-line block ×7, first 2 shown]
	s_branch .LBB22_11
.LBB22_8:                               ;   in Loop: Header=BB22_11 Depth=2
	s_or_b64 exec, exec, s[24:25]
.LBB22_9:                               ;   in Loop: Header=BB22_11 Depth=2
	s_or_b64 exec, exec, s[8:9]
.LBB22_10:                              ;   in Loop: Header=BB22_11 Depth=2
	s_or_b64 exec, exec, s[22:23]
	s_addk_i32 s38, 0x400
	s_cmp_ge_u32 s38, s10
	s_cbranch_scc1 .LBB22_32
.LBB22_11:                              ;   Parent Loop BB22_6 Depth=1
                                        ; =>  This Loop Header: Depth=2
                                        ;       Child Loop BB22_15 Depth 3
	s_cmp_eq_u32 s38, 0
	s_cselect_b64 s[8:9], -1, 0
	s_add_i32 s22, s37, s30
	s_cmp_eq_u32 s38, s22
	s_cselect_b64 s[24:25], -1, 0
	s_or_b64 s[24:25], s[8:9], s[24:25]
	s_andn2_b64 vcc, exec, s[24:25]
	s_cbranch_vccnz .LBB22_19
; %bb.12:                               ;   in Loop: Header=BB22_11 Depth=2
	s_and_b64 s[8:9], s[8:9], exec
	s_cselect_b32 s37, s37, s22
	s_and_b64 vcc, exec, s[4:5]
	s_waitcnt lgkmcnt(0)
	s_barrier
	s_cbranch_vccnz .LBB22_18
; %bb.13:                               ;   in Loop: Header=BB22_11 Depth=2
	v_add_u32_e32 v39, s37, v38
	s_mov_b32 s26, 0
	s_mov_b64 s[22:23], 0
	v_mov_b32_e32 v40, v37
                                        ; implicit-def: $sgpr24_sgpr25
	s_branch .LBB22_15
.LBB22_14:                              ;   in Loop: Header=BB22_15 Depth=3
	s_or_b64 exec, exec, s[8:9]
	s_and_b64 s[8:9], exec, s[24:25]
	s_or_b64 s[22:23], s[8:9], s[22:23]
	s_andn2_b64 exec, exec, s[22:23]
	s_cbranch_execz .LBB22_17
.LBB22_15:                              ;   Parent Loop BB22_6 Depth=1
                                        ;     Parent Loop BB22_11 Depth=2
                                        ; =>    This Inner Loop Header: Depth=3
	v_add_u32_e32 v41, s26, v38
	v_add_u32_e32 v34, s26, v39
	v_cmp_gt_u32_e32 vcc, s10, v34
	v_cmp_gt_u32_e64 s[8:9], s30, v41
	s_and_b64 s[40:41], vcc, s[8:9]
	s_or_b64 s[24:25], s[24:25], exec
	s_and_saveexec_b64 s[8:9], s[40:41]
	s_cbranch_execz .LBB22_14
; %bb.16:                               ;   in Loop: Header=BB22_15 Depth=3
	v_lshl_add_u64 v[42:43], v[34:35], 1, s[14:15]
	global_load_dwordx4 v[42:45], v[42:43], off
	s_add_i32 s26, s26, s31
	s_cmp_ge_u32 s26, s30
	s_cselect_b64 s[40:41], -1, 0
	s_andn2_b64 s[24:25], s[24:25], exec
	s_and_b64 s[40:41], s[40:41], exec
	s_or_b64 s[24:25], s[24:25], s[40:41]
	s_waitcnt vmcnt(0)
	ds_write_b128 v40, v[42:45]
	v_add_u32_e32 v40, s34, v40
	s_branch .LBB22_14
.LBB22_17:                              ;   in Loop: Header=BB22_11 Depth=2
	s_or_b64 exec, exec, s[22:23]
.LBB22_18:                              ;   in Loop: Header=BB22_11 Depth=2
	s_waitcnt lgkmcnt(0)
	s_barrier
.LBB22_19:                              ;   in Loop: Header=BB22_11 Depth=2
	s_and_saveexec_b64 s[22:23], s[6:7]
	s_cbranch_execz .LBB22_10
; %bb.20:                               ;   in Loop: Header=BB22_11 Depth=2
	v_add_u32_e32 v39, s38, v36
	v_cmp_gt_u32_e32 vcc, s10, v39
	s_and_saveexec_b64 s[24:25], vcc
	s_cbranch_execnz .LBB22_23
; %bb.21:                               ;   in Loop: Header=BB22_11 Depth=2
	s_or_b64 exec, exec, s[24:25]
	s_and_saveexec_b64 s[24:25], vcc
	s_cbranch_execnz .LBB22_26
.LBB22_22:                              ;   in Loop: Header=BB22_11 Depth=2
	s_or_b64 exec, exec, s[24:25]
	s_and_saveexec_b64 s[8:9], vcc
	s_cbranch_execz .LBB22_9
	s_branch .LBB22_29
.LBB22_23:                              ;   in Loop: Header=BB22_11 Depth=2
	v_add_u32_e32 v34, v39, v33
	s_waitcnt lgkmcnt(0)
	v_lshl_add_u64 v[40:41], v[34:35], 1, s[12:13]
	v_lshl_add_u64 v[42:43], s[18:19], 1, v[40:41]
	global_load_dwordx4 v[20:23], v[40:41], off nt
	global_load_dwordx4 v[16:19], v[42:43], off nt
	v_add_u32_e32 v34, 0x200, v39
	v_cmp_gt_u32_e64 s[8:9], s10, v34
	s_and_saveexec_b64 s[26:27], s[8:9]
	s_cbranch_execz .LBB22_25
; %bb.24:                               ;   in Loop: Header=BB22_11 Depth=2
	v_add_u32_e32 v34, v34, v33
	v_lshl_add_u64 v[40:41], v[34:35], 1, s[12:13]
	v_lshl_add_u64 v[42:43], s[18:19], 1, v[40:41]
	global_load_dwordx4 v[12:15], v[40:41], off nt
	global_load_dwordx4 v[8:11], v[42:43], off nt
.LBB22_25:                              ;   in Loop: Header=BB22_11 Depth=2
	s_or_b64 exec, exec, s[26:27]
	s_or_b64 exec, exec, s[24:25]
	s_and_saveexec_b64 s[24:25], vcc
	s_cbranch_execz .LBB22_22
.LBB22_26:                              ;   in Loop: Header=BB22_11 Depth=2
	s_waitcnt lgkmcnt(0)
	v_subrev_u32_e32 v4, s37, v39
	v_lshlrev_b32_e32 v34, 1, v4
	ds_read_b128 v[4:7], v34
	v_add_u32_e32 v40, 0x200, v39
	v_cmp_gt_u32_e64 s[8:9], s10, v40
	s_and_saveexec_b64 s[26:27], s[8:9]
	s_cbranch_execz .LBB22_28
; %bb.27:                               ;   in Loop: Header=BB22_11 Depth=2
	ds_read_b128 v[0:3], v34 offset:1024
.LBB22_28:                              ;   in Loop: Header=BB22_11 Depth=2
	s_or_b64 exec, exec, s[26:27]
	s_or_b64 exec, exec, s[24:25]
	s_and_saveexec_b64 s[8:9], vcc
	s_cbranch_execz .LBB22_9
.LBB22_29:                              ;   in Loop: Header=BB22_11 Depth=2
	s_waitcnt vmcnt(1) lgkmcnt(0)
	v_mfma_f32_4x4x4_16b_bf16 v[28:31], v[4:5], v[20:21], v[28:31]
	v_add_u32_e32 v34, 0x200, v39
	s_waitcnt vmcnt(0)
	v_mfma_f32_4x4x4_16b_bf16 v[24:27], v[4:5], v[16:17], v[24:27]
	v_cmp_gt_u32_e32 vcc, s10, v34
	v_mfma_f32_4x4x4_16b_bf16 v[28:31], v[6:7], v[22:23], v[28:31]
	v_mfma_f32_4x4x4_16b_bf16 v[24:27], v[6:7], v[18:19], v[24:27]
	s_and_saveexec_b64 s[24:25], vcc
	s_cbranch_execz .LBB22_8
; %bb.30:                               ;   in Loop: Header=BB22_11 Depth=2
	v_mfma_f32_4x4x4_16b_bf16 v[28:31], v[0:1], v[12:13], v[28:31]
	v_mfma_f32_4x4x4_16b_bf16 v[24:27], v[0:1], v[8:9], v[24:27]
	s_nop 0
	v_mfma_f32_4x4x4_16b_bf16 v[28:31], v[2:3], v[14:15], v[28:31]
	v_mfma_f32_4x4x4_16b_bf16 v[24:27], v[2:3], v[10:11], v[24:27]
	s_branch .LBB22_8
.LBB22_31:                              ;   in Loop: Header=BB22_6 Depth=1
	v_mov_b32_e32 v31, v35
	v_mov_b32_e32 v30, v35
	;; [unrolled: 1-line block ×8, first 2 shown]
.LBB22_32:                              ;   in Loop: Header=BB22_6 Depth=1
	v_cmp_le_u32_e32 vcc, s11, v32
	s_and_saveexec_b64 s[6:7], vcc
	s_xor_b64 s[6:7], exec, s[6:7]
; %bb.33:                               ;   in Loop: Header=BB22_6 Depth=1
	v_add_u32_e32 v32, s33, v32
                                        ; implicit-def: $vgpr31
                                        ; implicit-def: $vgpr27
; %bb.34:                               ;   in Loop: Header=BB22_6 Depth=1
	s_andn2_saveexec_b64 s[8:9], s[6:7]
	s_cbranch_execz .LBB22_5
; %bb.35:                               ;   in Loop: Header=BB22_6 Depth=1
	;;#ASMSTART
	s_nop 0
	v_add_f32 v28, v29, v28 row_shl:1 bound_ctrl:0 
	;;#ASMEND
	;;#ASMSTART
	s_nop 0
	v_add_f32 v24, v25, v24 row_shl:1 bound_ctrl:0 
	;;#ASMEND
	s_nop 0
	;;#ASMSTART
	s_nop 0
	v_add_f32 v28, v30, v28 row_shl:2 bound_ctrl:0 
	;;#ASMEND
	;;#ASMSTART
	s_nop 0
	v_add_f32 v24, v26, v24 row_shl:2 bound_ctrl:0 
	;;#ASMEND
	s_nop 0
	;; [unrolled: 9-line block ×5, first 2 shown]
	;;#ASMSTART
	s_nop 0
	v_mov_b32 v28, v28 row_shr:15 bound_ctrl:0 
	;;#ASMEND
	;;#ASMSTART
	s_nop 0
	v_mov_b32 v24, v24 row_shr:15 bound_ctrl:0 
	;;#ASMEND
	s_nop 0
	;;#ASMSTART
	s_nop 0
	v_add_f32 v28, v28, v28 row_bcast:15 bound_ctrl:0
	;;#ASMEND
	;;#ASMSTART
	s_nop 0
	v_add_f32 v24, v24, v24 row_bcast:15 bound_ctrl:0
	;;#ASMEND
	s_nop 0
	;;#ASMSTART
	s_nop 0
	v_add_f32 v28, v28, v28 row_bcast:31 bound_ctrl:0
	;;#ASMEND
	;;#ASMSTART
	s_nop 0
	v_add_f32 v24, v24, v24 row_bcast:31 bound_ctrl:0
	;;#ASMEND
	s_and_saveexec_b64 s[6:7], s[0:1]
	s_cbranch_execz .LBB22_4
; %bb.36:                               ;   in Loop: Header=BB22_6 Depth=1
	v_and_b32_e32 v25, 0x7f800000, v28
	v_cmp_ne_u32_e32 vcc, s35, v25
                                        ; implicit-def: $vgpr25
	s_and_saveexec_b64 s[22:23], vcc
	s_xor_b64 s[22:23], exec, s[22:23]
; %bb.37:                               ;   in Loop: Header=BB22_6 Depth=1
	v_bfe_u32 v25, v28, 16, 1
	v_add3_u32 v25, v28, v25, s36
                                        ; implicit-def: $vgpr28
; %bb.38:                               ;   in Loop: Header=BB22_6 Depth=1
	s_andn2_saveexec_b64 s[22:23], s[22:23]
; %bb.39:                               ;   in Loop: Header=BB22_6 Depth=1
	v_or_b32_e32 v25, 0x10000, v28
	v_cmp_eq_u32_sdwa vcc, v28, v35 src0_sel:WORD_0 src1_sel:DWORD
	s_nop 1
	v_cndmask_b32_e32 v25, v25, v28, vcc
; %bb.40:                               ;   in Loop: Header=BB22_6 Depth=1
	s_or_b64 exec, exec, s[22:23]
	v_mov_b32_e32 v33, v35
	s_waitcnt lgkmcnt(0)
	v_lshl_add_u64 v[26:27], v[32:33], 1, s[16:17]
	global_store_short_d16_hi v[26:27], v25, off
	v_and_b32_e32 v25, 0x7f800000, v24
	v_cmp_ne_u32_e32 vcc, s35, v25
                                        ; implicit-def: $vgpr25
	s_and_saveexec_b64 s[22:23], vcc
	s_xor_b64 s[22:23], exec, s[22:23]
; %bb.41:                               ;   in Loop: Header=BB22_6 Depth=1
	v_bfe_u32 v25, v24, 16, 1
	v_add3_u32 v25, v24, v25, s36
                                        ; implicit-def: $vgpr24
; %bb.42:                               ;   in Loop: Header=BB22_6 Depth=1
	s_andn2_saveexec_b64 s[22:23], s[22:23]
	s_cbranch_execz .LBB22_3
; %bb.43:                               ;   in Loop: Header=BB22_6 Depth=1
	v_or_b32_e32 v25, 0x10000, v24
	v_cmp_eq_u32_sdwa vcc, v24, v35 src0_sel:WORD_0 src1_sel:DWORD
	s_nop 1
	v_cndmask_b32_e32 v25, v25, v24, vcc
	s_branch .LBB22_3
.LBB22_44:
	s_endpgm
	.section	.rodata,"a",@progbits
	.p2align	6, 0x0
	.amdhsa_kernel _Z16wvSplitK_hf_big_I14__hip_bfloat16Li64ELi2ELi16ELi8ELi2ELi1EEviiPKT_S3_PS1_ii
		.amdhsa_group_segment_fixed_size 65536
		.amdhsa_private_segment_fixed_size 0
		.amdhsa_kernarg_size 40
		.amdhsa_user_sgpr_count 2
		.amdhsa_user_sgpr_dispatch_ptr 0
		.amdhsa_user_sgpr_queue_ptr 0
		.amdhsa_user_sgpr_kernarg_segment_ptr 1
		.amdhsa_user_sgpr_dispatch_id 0
		.amdhsa_user_sgpr_kernarg_preload_length 0
		.amdhsa_user_sgpr_kernarg_preload_offset 0
		.amdhsa_user_sgpr_private_segment_size 0
		.amdhsa_uses_dynamic_stack 0
		.amdhsa_enable_private_segment 0
		.amdhsa_system_sgpr_workgroup_id_x 1
		.amdhsa_system_sgpr_workgroup_id_y 0
		.amdhsa_system_sgpr_workgroup_id_z 0
		.amdhsa_system_sgpr_workgroup_info 0
		.amdhsa_system_vgpr_workitem_id 1
		.amdhsa_next_free_vgpr 46
		.amdhsa_next_free_sgpr 42
		.amdhsa_accum_offset 48
		.amdhsa_reserve_vcc 1
		.amdhsa_float_round_mode_32 0
		.amdhsa_float_round_mode_16_64 0
		.amdhsa_float_denorm_mode_32 3
		.amdhsa_float_denorm_mode_16_64 3
		.amdhsa_dx10_clamp 1
		.amdhsa_ieee_mode 1
		.amdhsa_fp16_overflow 0
		.amdhsa_tg_split 0
		.amdhsa_exception_fp_ieee_invalid_op 0
		.amdhsa_exception_fp_denorm_src 0
		.amdhsa_exception_fp_ieee_div_zero 0
		.amdhsa_exception_fp_ieee_overflow 0
		.amdhsa_exception_fp_ieee_underflow 0
		.amdhsa_exception_fp_ieee_inexact 0
		.amdhsa_exception_int_div_zero 0
	.end_amdhsa_kernel
	.section	.text._Z16wvSplitK_hf_big_I14__hip_bfloat16Li64ELi2ELi16ELi8ELi2ELi1EEviiPKT_S3_PS1_ii,"axG",@progbits,_Z16wvSplitK_hf_big_I14__hip_bfloat16Li64ELi2ELi16ELi8ELi2ELi1EEviiPKT_S3_PS1_ii,comdat
.Lfunc_end22:
	.size	_Z16wvSplitK_hf_big_I14__hip_bfloat16Li64ELi2ELi16ELi8ELi2ELi1EEviiPKT_S3_PS1_ii, .Lfunc_end22-_Z16wvSplitK_hf_big_I14__hip_bfloat16Li64ELi2ELi16ELi8ELi2ELi1EEviiPKT_S3_PS1_ii
                                        ; -- End function
	.section	.AMDGPU.csdata,"",@progbits
; Kernel info:
; codeLenInByte = 1612
; NumSgprs: 48
; NumVgprs: 46
; NumAgprs: 0
; TotalNumVgprs: 46
; ScratchSize: 0
; MemoryBound: 0
; FloatMode: 240
; IeeeMode: 1
; LDSByteSize: 65536 bytes/workgroup (compile time only)
; SGPRBlocks: 5
; VGPRBlocks: 5
; NumSGPRsForWavesPerEU: 48
; NumVGPRsForWavesPerEU: 46
; AccumOffset: 48
; Occupancy: 4
; WaveLimiterHint : 0
; COMPUTE_PGM_RSRC2:SCRATCH_EN: 0
; COMPUTE_PGM_RSRC2:USER_SGPR: 2
; COMPUTE_PGM_RSRC2:TRAP_HANDLER: 0
; COMPUTE_PGM_RSRC2:TGID_X_EN: 1
; COMPUTE_PGM_RSRC2:TGID_Y_EN: 0
; COMPUTE_PGM_RSRC2:TGID_Z_EN: 0
; COMPUTE_PGM_RSRC2:TIDIG_COMP_CNT: 1
; COMPUTE_PGM_RSRC3_GFX90A:ACCUM_OFFSET: 11
; COMPUTE_PGM_RSRC3_GFX90A:TG_SPLIT: 0
	.section	.text._Z16wvSplitK_hf_sml_I14__hip_bfloat16Li64ELi2ELi16ELi8ELi2ELi2EEviiPKT_S3_PS1_ii,"axG",@progbits,_Z16wvSplitK_hf_sml_I14__hip_bfloat16Li64ELi2ELi16ELi8ELi2ELi2EEviiPKT_S3_PS1_ii,comdat
	.protected	_Z16wvSplitK_hf_sml_I14__hip_bfloat16Li64ELi2ELi16ELi8ELi2ELi2EEviiPKT_S3_PS1_ii ; -- Begin function _Z16wvSplitK_hf_sml_I14__hip_bfloat16Li64ELi2ELi16ELi8ELi2ELi2EEviiPKT_S3_PS1_ii
	.globl	_Z16wvSplitK_hf_sml_I14__hip_bfloat16Li64ELi2ELi16ELi8ELi2ELi2EEviiPKT_S3_PS1_ii
	.p2align	8
	.type	_Z16wvSplitK_hf_sml_I14__hip_bfloat16Li64ELi2ELi16ELi8ELi2ELi2EEviiPKT_S3_PS1_ii,@function
_Z16wvSplitK_hf_sml_I14__hip_bfloat16Li64ELi2ELi16ELi8ELi2ELi2EEviiPKT_S3_PS1_ii: ; @_Z16wvSplitK_hf_sml_I14__hip_bfloat16Li64ELi2ELi16ELi8ELi2ELi2EEviiPKT_S3_PS1_ii
; %bb.0:
	s_load_dwordx2 s[6:7], s[0:1], 0x0
	v_and_b32_e32 v2, 0x3ff, v0
	v_bfe_u32 v3, v0, 10, 10
	v_lshlrev_b32_e32 v52, 3, v2
	s_mov_b32 s3, 0
	s_waitcnt lgkmcnt(0)
	s_lshl_b32 s20, s6, 1
	s_cmp_lg_u32 s6, 0
	s_cselect_b64 s[4:5], -1, 0
	s_cmp_eq_u32 s6, 0
	s_cbranch_scc1 .LBB23_6
; %bb.1:
	s_load_dwordx2 s[8:9], s[0:1], 0x10
	v_lshlrev_b32_e32 v0, 4, v2
	s_min_i32 s16, s20, 0x8000
	v_lshl_add_u32 v4, v3, 10, v0
	v_lshl_add_u32 v5, v3, 9, v52
	s_mov_b64 s[10:11], 0
	v_mov_b32_e32 v1, 0
                                        ; implicit-def: $sgpr12_sgpr13
	s_branch .LBB23_3
.LBB23_2:                               ;   in Loop: Header=BB23_3 Depth=1
	s_or_b64 exec, exec, s[14:15]
	s_and_b64 s[14:15], exec, s[12:13]
	s_or_b64 s[10:11], s[14:15], s[10:11]
	s_andn2_b64 exec, exec, s[10:11]
	s_cbranch_execz .LBB23_5
.LBB23_3:                               ; =>This Inner Loop Header: Depth=1
	v_add_u32_e32 v0, s3, v5
	v_cmp_gt_u32_e32 vcc, s16, v0
	s_or_b64 s[12:13], s[12:13], exec
	s_and_saveexec_b64 s[14:15], vcc
	s_cbranch_execz .LBB23_2
; %bb.4:                                ;   in Loop: Header=BB23_3 Depth=1
	s_waitcnt lgkmcnt(0)
	v_lshl_add_u64 v[6:7], v[0:1], 1, s[8:9]
	global_load_dwordx4 v[6:9], v[6:7], off
	s_addk_i32 s3, 0x2000
	s_cmp_ge_u32 s3, s16
	s_cselect_b64 s[18:19], -1, 0
	s_andn2_b64 s[12:13], s[12:13], exec
	s_and_b64 s[18:19], s[18:19], exec
	s_or_b64 s[12:13], s[12:13], s[18:19]
	s_waitcnt vmcnt(0)
	ds_write_b128 v4, v[6:9]
	v_add_u32_e32 v4, 0x4000, v4
	s_branch .LBB23_2
.LBB23_5:
	s_or_b64 exec, exec, s[10:11]
.LBB23_6:
	s_load_dwordx2 s[12:13], s[0:1], 0x20
	s_waitcnt lgkmcnt(0)
	s_barrier
	v_cmp_gt_u32_e32 vcc, s12, v3
	s_and_saveexec_b64 s[8:9], vcc
	s_cbranch_execz .LBB23_44
; %bb.7:
	s_mul_i32 s2, s2, s12
	v_add_u32_e32 v0, s2, v3
	v_lshlrev_b32_e32 v48, 1, v0
	v_cmp_gt_u32_e32 vcc, s7, v48
	s_and_b64 exec, exec, vcc
	s_cbranch_execz .LBB23_44
; %bb.8:
	s_load_dwordx2 s[8:9], s[0:1], 0x8
	s_load_dwordx2 s[10:11], s[0:1], 0x18
	s_mul_i32 s2, s12, s13
	v_mul_lo_u32 v0, s6, v0
	s_lshl_b32 s21, s2, 1
	v_lshl_add_u32 v54, v0, 1, v52
	s_mul_i32 s2, s2, s6
	v_cndmask_b32_e64 v0, 0, 1, s[4:5]
	v_cmp_eq_u32_e64 s[0:1], 63, v2
	s_ashr_i32 s13, s6, 31
	s_mov_b32 s12, s6
	v_lshlrev_b32_e32 v53, 4, v2
	s_lshl_b32 s22, s2, 1
	s_mov_b64 s[14:15], 0
	v_cmp_ne_u32_e64 s[2:3], 1, v0
	v_mov_b32_e32 v51, 0
	s_mov_b32 s23, 0x7f800000
	s_movk_i32 s24, 0x7fff
                                        ; implicit-def: $vgpr14_vgpr15
                                        ; implicit-def: $vgpr6_vgpr7
                                        ; implicit-def: $vgpr2_vgpr3
                                        ; implicit-def: $vgpr10_vgpr11
                                        ; implicit-def: $vgpr16_vgpr17_vgpr18_vgpr19
                                        ; implicit-def: $vgpr20_vgpr21_vgpr22_vgpr23
                                        ; implicit-def: $vgpr24_vgpr25_vgpr26_vgpr27
                                        ; implicit-def: $vgpr28_vgpr29_vgpr30_vgpr31
	s_branch .LBB23_11
.LBB23_9:                               ;   in Loop: Header=BB23_11 Depth=1
	s_or_b64 exec, exec, s[16:17]
	v_add_u32_e32 v50, 1, v50
	v_lshl_add_u64 v[34:35], v[50:51], 1, s[10:11]
	global_store_short_d16_hi v[34:35], v33, off
.LBB23_10:                              ;   in Loop: Header=BB23_11 Depth=1
	s_or_b64 exec, exec, s[4:5]
	v_add_u32_e32 v48, s21, v48
	v_cmp_le_u32_e32 vcc, s7, v48
	s_or_b64 s[14:15], vcc, s[14:15]
	v_add_u32_e32 v54, s22, v54
	s_andn2_b64 exec, exec, s[14:15]
	s_cbranch_execz .LBB23_44
.LBB23_11:                              ; =>This Loop Header: Depth=1
                                        ;     Child Loop BB23_15 Depth 2
	s_and_b64 vcc, exec, s[2:3]
	s_cbranch_vccnz .LBB23_26
; %bb.12:                               ;   in Loop: Header=BB23_11 Depth=1
	v_mov_b32_e32 v32, 0
	s_mov_b32 s25, 0
	v_mov_b32_e32 v49, v53
	v_mov_b32_e32 v33, v32
	;; [unrolled: 1-line block ×16, first 2 shown]
	s_branch .LBB23_15
.LBB23_13:                              ;   in Loop: Header=BB23_15 Depth=2
	s_or_b64 exec, exec, s[16:17]
.LBB23_14:                              ;   in Loop: Header=BB23_15 Depth=2
	s_or_b64 exec, exec, s[4:5]
	s_addk_i32 s25, 0x400
	s_cmp_ge_u32 s25, s6
	v_add_u32_e32 v49, 0x800, v49
	s_cbranch_scc1 .LBB23_27
.LBB23_15:                              ;   Parent Loop BB23_11 Depth=1
                                        ; =>  This Inner Loop Header: Depth=2
	v_add_u32_e32 v50, s25, v52
	v_cmp_gt_u32_e32 vcc, s6, v50
	v_add_u32_e32 v55, 0x200, v50
	s_and_saveexec_b64 s[16:17], vcc
	s_cbranch_execnz .LBB23_18
; %bb.16:                               ;   in Loop: Header=BB23_15 Depth=2
	s_or_b64 exec, exec, s[16:17]
	s_and_saveexec_b64 s[16:17], vcc
	s_cbranch_execnz .LBB23_21
.LBB23_17:                              ;   in Loop: Header=BB23_15 Depth=2
	s_or_b64 exec, exec, s[16:17]
	s_and_saveexec_b64 s[4:5], vcc
	s_cbranch_execz .LBB23_14
	s_branch .LBB23_24
.LBB23_18:                              ;   in Loop: Header=BB23_15 Depth=2
	v_add_u32_e32 v50, s25, v54
	s_waitcnt lgkmcnt(0)
	v_lshl_add_u64 v[56:57], v[50:51], 1, s[8:9]
	v_lshl_add_u64 v[58:59], s[12:13], 1, v[56:57]
	global_load_dwordx4 v[28:31], v[56:57], off nt
	global_load_dwordx4 v[20:23], v[58:59], off nt
	v_cmp_gt_u32_e64 s[4:5], s6, v55
	s_and_saveexec_b64 s[18:19], s[4:5]
	s_cbranch_execz .LBB23_20
; %bb.19:                               ;   in Loop: Header=BB23_15 Depth=2
	v_add_u32_e32 v50, 0x200, v50
	v_lshl_add_u64 v[56:57], v[50:51], 1, s[8:9]
	v_lshl_add_u64 v[58:59], s[12:13], 1, v[56:57]
	global_load_dwordx4 v[24:27], v[56:57], off nt
	global_load_dwordx4 v[16:19], v[58:59], off nt
.LBB23_20:                              ;   in Loop: Header=BB23_15 Depth=2
	s_or_b64 exec, exec, s[18:19]
	s_or_b64 exec, exec, s[16:17]
	s_and_saveexec_b64 s[16:17], vcc
	s_cbranch_execz .LBB23_17
.LBB23_21:                              ;   in Loop: Header=BB23_15 Depth=2
	v_add_u32_e32 v50, s20, v49
	s_waitcnt lgkmcnt(0)
	ds_read_b128 v[8:11], v49
	ds_read_b128 v[4:7], v50
	v_cmp_gt_u32_e64 s[4:5], s6, v55
	s_and_saveexec_b64 s[18:19], s[4:5]
	s_cbranch_execz .LBB23_23
; %bb.22:                               ;   in Loop: Header=BB23_15 Depth=2
	ds_read_b128 v[0:3], v49 offset:1024
	ds_read_b128 v[12:15], v50 offset:1024
.LBB23_23:                              ;   in Loop: Header=BB23_15 Depth=2
	s_or_b64 exec, exec, s[18:19]
	s_or_b64 exec, exec, s[16:17]
	s_and_saveexec_b64 s[4:5], vcc
	s_cbranch_execz .LBB23_14
.LBB23_24:                              ;   in Loop: Header=BB23_15 Depth=2
	s_waitcnt vmcnt(1) lgkmcnt(0)
	v_mfma_f32_4x4x4_16b_bf16 v[44:47], v[8:9], v[28:29], v[44:47]
	v_cmp_gt_u32_e32 vcc, s6, v55
	s_waitcnt vmcnt(0)
	v_mfma_f32_4x4x4_16b_bf16 v[40:43], v[8:9], v[20:21], v[40:43]
	v_mfma_f32_4x4x4_16b_bf16 v[36:39], v[4:5], v[28:29], v[36:39]
	;; [unrolled: 1-line block ×7, first 2 shown]
	s_and_saveexec_b64 s[16:17], vcc
	s_cbranch_execz .LBB23_13
; %bb.25:                               ;   in Loop: Header=BB23_15 Depth=2
	v_mfma_f32_4x4x4_16b_bf16 v[44:47], v[0:1], v[24:25], v[44:47]
	v_mfma_f32_4x4x4_16b_bf16 v[40:43], v[0:1], v[16:17], v[40:43]
	;; [unrolled: 1-line block ×8, first 2 shown]
	s_branch .LBB23_13
.LBB23_26:                              ;   in Loop: Header=BB23_11 Depth=1
	v_mov_b32_e32 v47, v51
	v_mov_b32_e32 v46, v51
	;; [unrolled: 1-line block ×16, first 2 shown]
.LBB23_27:                              ;   in Loop: Header=BB23_11 Depth=1
	;;#ASMSTART
	s_nop 0
	v_add_f32 v44, v45, v44 row_shl:1 bound_ctrl:0 
	;;#ASMEND
	;;#ASMSTART
	s_nop 0
	v_add_f32 v40, v41, v40 row_shl:1 bound_ctrl:0 
	;;#ASMEND
	;;#ASMSTART
	s_nop 0
	v_add_f32 v36, v37, v36 row_shl:1 bound_ctrl:0 
	;;#ASMEND
	;;#ASMSTART
	s_nop 0
	v_add_f32 v32, v33, v32 row_shl:1 bound_ctrl:0 
	;;#ASMEND
	s_nop 0
	;;#ASMSTART
	s_nop 0
	v_add_f32 v44, v46, v44 row_shl:2 bound_ctrl:0 
	;;#ASMEND
	;;#ASMSTART
	s_nop 0
	v_add_f32 v40, v42, v40 row_shl:2 bound_ctrl:0 
	;;#ASMEND
	;;#ASMSTART
	s_nop 0
	v_add_f32 v36, v38, v36 row_shl:2 bound_ctrl:0 
	;;#ASMEND
	;;#ASMSTART
	s_nop 0
	v_add_f32 v32, v34, v32 row_shl:2 bound_ctrl:0 
	;;#ASMEND
	s_nop 0
	;; [unrolled: 17-line block ×5, first 2 shown]
	;;#ASMSTART
	s_nop 0
	v_mov_b32 v44, v44 row_shr:15 bound_ctrl:0 
	;;#ASMEND
	;;#ASMSTART
	s_nop 0
	v_mov_b32 v40, v40 row_shr:15 bound_ctrl:0 
	;;#ASMEND
	;; [unrolled: 4-line block ×4, first 2 shown]
	s_nop 0
	;;#ASMSTART
	s_nop 0
	v_add_f32 v44, v44, v44 row_bcast:15 bound_ctrl:0
	;;#ASMEND
	;;#ASMSTART
	s_nop 0
	v_add_f32 v40, v40, v40 row_bcast:15 bound_ctrl:0
	;;#ASMEND
	;; [unrolled: 4-line block ×4, first 2 shown]
	s_nop 0
	;;#ASMSTART
	s_nop 0
	v_add_f32 v44, v44, v44 row_bcast:31 bound_ctrl:0
	;;#ASMEND
	;;#ASMSTART
	s_nop 0
	v_add_f32 v40, v40, v40 row_bcast:31 bound_ctrl:0
	;;#ASMEND
	;; [unrolled: 4-line block ×4, first 2 shown]
	s_and_saveexec_b64 s[4:5], s[0:1]
	s_cbranch_execz .LBB23_10
; %bb.28:                               ;   in Loop: Header=BB23_11 Depth=1
	v_and_b32_e32 v33, 0x7f800000, v44
	v_cmp_ne_u32_e32 vcc, s23, v33
                                        ; implicit-def: $vgpr33
	s_and_saveexec_b64 s[16:17], vcc
	s_xor_b64 s[16:17], exec, s[16:17]
; %bb.29:                               ;   in Loop: Header=BB23_11 Depth=1
	v_bfe_u32 v33, v44, 16, 1
	v_add3_u32 v33, v44, v33, s24
                                        ; implicit-def: $vgpr44
; %bb.30:                               ;   in Loop: Header=BB23_11 Depth=1
	s_andn2_saveexec_b64 s[16:17], s[16:17]
; %bb.31:                               ;   in Loop: Header=BB23_11 Depth=1
	v_or_b32_e32 v33, 0x10000, v44
	v_cmp_eq_u32_sdwa vcc, v44, v51 src0_sel:WORD_0 src1_sel:DWORD
	s_nop 1
	v_cndmask_b32_e32 v33, v33, v44, vcc
; %bb.32:                               ;   in Loop: Header=BB23_11 Depth=1
	s_or_b64 exec, exec, s[16:17]
	v_mov_b32_e32 v49, v51
	s_waitcnt lgkmcnt(0)
	v_lshl_add_u64 v[34:35], v[48:49], 1, s[10:11]
	global_store_short_d16_hi v[34:35], v33, off
	v_and_b32_e32 v33, 0x7f800000, v40
	v_cmp_ne_u32_e32 vcc, s23, v33
                                        ; implicit-def: $vgpr33
	s_and_saveexec_b64 s[16:17], vcc
	s_xor_b64 s[16:17], exec, s[16:17]
; %bb.33:                               ;   in Loop: Header=BB23_11 Depth=1
	v_bfe_u32 v33, v40, 16, 1
	v_add3_u32 v33, v40, v33, s24
                                        ; implicit-def: $vgpr40
; %bb.34:                               ;   in Loop: Header=BB23_11 Depth=1
	s_andn2_saveexec_b64 s[16:17], s[16:17]
; %bb.35:                               ;   in Loop: Header=BB23_11 Depth=1
	v_or_b32_e32 v33, 0x10000, v40
	v_cmp_eq_u32_sdwa vcc, v40, v51 src0_sel:WORD_0 src1_sel:DWORD
	s_nop 1
	v_cndmask_b32_e32 v33, v33, v40, vcc
; %bb.36:                               ;   in Loop: Header=BB23_11 Depth=1
	s_or_b64 exec, exec, s[16:17]
	global_store_short_d16_hi v[34:35], v33, off offset:2
	v_and_b32_e32 v33, 0x7f800000, v36
	v_cmp_ne_u32_e32 vcc, s23, v33
                                        ; implicit-def: $vgpr33
	s_and_saveexec_b64 s[16:17], vcc
	s_xor_b64 s[16:17], exec, s[16:17]
; %bb.37:                               ;   in Loop: Header=BB23_11 Depth=1
	v_bfe_u32 v33, v36, 16, 1
	v_add3_u32 v33, v36, v33, s24
                                        ; implicit-def: $vgpr36
; %bb.38:                               ;   in Loop: Header=BB23_11 Depth=1
	s_andn2_saveexec_b64 s[16:17], s[16:17]
; %bb.39:                               ;   in Loop: Header=BB23_11 Depth=1
	v_or_b32_e32 v33, 0x10000, v36
	v_cmp_eq_u32_sdwa vcc, v36, v51 src0_sel:WORD_0 src1_sel:DWORD
	s_nop 1
	v_cndmask_b32_e32 v33, v33, v36, vcc
; %bb.40:                               ;   in Loop: Header=BB23_11 Depth=1
	s_or_b64 exec, exec, s[16:17]
	v_add_u32_e32 v50, s7, v48
	v_lshl_add_u64 v[34:35], v[50:51], 1, s[10:11]
	global_store_short_d16_hi v[34:35], v33, off
	v_and_b32_e32 v33, 0x7f800000, v32
	v_cmp_ne_u32_e32 vcc, s23, v33
                                        ; implicit-def: $vgpr33
	s_and_saveexec_b64 s[16:17], vcc
	s_xor_b64 s[16:17], exec, s[16:17]
; %bb.41:                               ;   in Loop: Header=BB23_11 Depth=1
	v_bfe_u32 v33, v32, 16, 1
	v_add3_u32 v33, v32, v33, s24
                                        ; implicit-def: $vgpr32
; %bb.42:                               ;   in Loop: Header=BB23_11 Depth=1
	s_andn2_saveexec_b64 s[16:17], s[16:17]
	s_cbranch_execz .LBB23_9
; %bb.43:                               ;   in Loop: Header=BB23_11 Depth=1
	v_or_b32_e32 v33, 0x10000, v32
	v_cmp_eq_u32_sdwa vcc, v32, v51 src0_sel:WORD_0 src1_sel:DWORD
	s_nop 1
	v_cndmask_b32_e32 v33, v33, v32, vcc
	s_branch .LBB23_9
.LBB23_44:
	s_endpgm
	.section	.rodata,"a",@progbits
	.p2align	6, 0x0
	.amdhsa_kernel _Z16wvSplitK_hf_sml_I14__hip_bfloat16Li64ELi2ELi16ELi8ELi2ELi2EEviiPKT_S3_PS1_ii
		.amdhsa_group_segment_fixed_size 65536
		.amdhsa_private_segment_fixed_size 0
		.amdhsa_kernarg_size 40
		.amdhsa_user_sgpr_count 2
		.amdhsa_user_sgpr_dispatch_ptr 0
		.amdhsa_user_sgpr_queue_ptr 0
		.amdhsa_user_sgpr_kernarg_segment_ptr 1
		.amdhsa_user_sgpr_dispatch_id 0
		.amdhsa_user_sgpr_kernarg_preload_length 0
		.amdhsa_user_sgpr_kernarg_preload_offset 0
		.amdhsa_user_sgpr_private_segment_size 0
		.amdhsa_uses_dynamic_stack 0
		.amdhsa_enable_private_segment 0
		.amdhsa_system_sgpr_workgroup_id_x 1
		.amdhsa_system_sgpr_workgroup_id_y 0
		.amdhsa_system_sgpr_workgroup_id_z 0
		.amdhsa_system_sgpr_workgroup_info 0
		.amdhsa_system_vgpr_workitem_id 1
		.amdhsa_next_free_vgpr 60
		.amdhsa_next_free_sgpr 26
		.amdhsa_accum_offset 60
		.amdhsa_reserve_vcc 1
		.amdhsa_float_round_mode_32 0
		.amdhsa_float_round_mode_16_64 0
		.amdhsa_float_denorm_mode_32 3
		.amdhsa_float_denorm_mode_16_64 3
		.amdhsa_dx10_clamp 1
		.amdhsa_ieee_mode 1
		.amdhsa_fp16_overflow 0
		.amdhsa_tg_split 0
		.amdhsa_exception_fp_ieee_invalid_op 0
		.amdhsa_exception_fp_denorm_src 0
		.amdhsa_exception_fp_ieee_div_zero 0
		.amdhsa_exception_fp_ieee_overflow 0
		.amdhsa_exception_fp_ieee_underflow 0
		.amdhsa_exception_fp_ieee_inexact 0
		.amdhsa_exception_int_div_zero 0
	.end_amdhsa_kernel
	.section	.text._Z16wvSplitK_hf_sml_I14__hip_bfloat16Li64ELi2ELi16ELi8ELi2ELi2EEviiPKT_S3_PS1_ii,"axG",@progbits,_Z16wvSplitK_hf_sml_I14__hip_bfloat16Li64ELi2ELi16ELi8ELi2ELi2EEviiPKT_S3_PS1_ii,comdat
.Lfunc_end23:
	.size	_Z16wvSplitK_hf_sml_I14__hip_bfloat16Li64ELi2ELi16ELi8ELi2ELi2EEviiPKT_S3_PS1_ii, .Lfunc_end23-_Z16wvSplitK_hf_sml_I14__hip_bfloat16Li64ELi2ELi16ELi8ELi2ELi2EEviiPKT_S3_PS1_ii
                                        ; -- End function
	.section	.AMDGPU.csdata,"",@progbits
; Kernel info:
; codeLenInByte = 1872
; NumSgprs: 32
; NumVgprs: 60
; NumAgprs: 0
; TotalNumVgprs: 60
; ScratchSize: 0
; MemoryBound: 0
; FloatMode: 240
; IeeeMode: 1
; LDSByteSize: 65536 bytes/workgroup (compile time only)
; SGPRBlocks: 3
; VGPRBlocks: 7
; NumSGPRsForWavesPerEU: 32
; NumVGPRsForWavesPerEU: 60
; AccumOffset: 60
; Occupancy: 4
; WaveLimiterHint : 0
; COMPUTE_PGM_RSRC2:SCRATCH_EN: 0
; COMPUTE_PGM_RSRC2:USER_SGPR: 2
; COMPUTE_PGM_RSRC2:TRAP_HANDLER: 0
; COMPUTE_PGM_RSRC2:TGID_X_EN: 1
; COMPUTE_PGM_RSRC2:TGID_Y_EN: 0
; COMPUTE_PGM_RSRC2:TGID_Z_EN: 0
; COMPUTE_PGM_RSRC2:TIDIG_COMP_CNT: 1
; COMPUTE_PGM_RSRC3_GFX90A:ACCUM_OFFSET: 14
; COMPUTE_PGM_RSRC3_GFX90A:TG_SPLIT: 0
	.section	.text._Z12wvSplitK_hf_I14__hip_bfloat16Li64ELi2ELi16ELi8ELi2ELi2EEviiPKT_S3_PS1_ii,"axG",@progbits,_Z12wvSplitK_hf_I14__hip_bfloat16Li64ELi2ELi16ELi8ELi2ELi2EEviiPKT_S3_PS1_ii,comdat
	.protected	_Z12wvSplitK_hf_I14__hip_bfloat16Li64ELi2ELi16ELi8ELi2ELi2EEviiPKT_S3_PS1_ii ; -- Begin function _Z12wvSplitK_hf_I14__hip_bfloat16Li64ELi2ELi16ELi8ELi2ELi2EEviiPKT_S3_PS1_ii
	.globl	_Z12wvSplitK_hf_I14__hip_bfloat16Li64ELi2ELi16ELi8ELi2ELi2EEviiPKT_S3_PS1_ii
	.p2align	8
	.type	_Z12wvSplitK_hf_I14__hip_bfloat16Li64ELi2ELi16ELi8ELi2ELi2EEviiPKT_S3_PS1_ii,@function
_Z12wvSplitK_hf_I14__hip_bfloat16Li64ELi2ELi16ELi8ELi2ELi2EEviiPKT_S3_PS1_ii: ; @_Z12wvSplitK_hf_I14__hip_bfloat16Li64ELi2ELi16ELi8ELi2ELi2EEviiPKT_S3_PS1_ii
; %bb.0:
	s_load_dwordx2 s[6:7], s[0:1], 0x0
	s_load_dwordx2 s[8:9], s[0:1], 0x10
	v_and_b32_e32 v2, 0x3ff, v0
	v_bfe_u32 v3, v0, 10, 10
	v_lshlrev_b32_e32 v48, 3, v2
	s_waitcnt lgkmcnt(0)
	s_lshl_b32 s22, s6, 1
	s_cmp_lg_u32 s6, 0
	s_mov_b32 s3, 0
	s_cselect_b64 s[4:5], -1, 0
	s_cmp_eq_u32 s6, 0
	v_lshlrev_b32_e32 v49, 4, v2
	s_cbranch_scc1 .LBB24_6
; %bb.1:
	v_lshlrev_b32_e32 v0, 4, v2
	s_min_i32 s16, s22, 0x8000
	v_lshl_add_u32 v4, v3, 10, v0
	v_lshl_add_u32 v5, v3, 9, v48
	s_mov_b64 s[10:11], 0
	v_mov_b32_e32 v1, 0
                                        ; implicit-def: $sgpr12_sgpr13
	s_branch .LBB24_3
.LBB24_2:                               ;   in Loop: Header=BB24_3 Depth=1
	s_or_b64 exec, exec, s[14:15]
	s_and_b64 s[14:15], exec, s[12:13]
	s_or_b64 s[10:11], s[14:15], s[10:11]
	s_andn2_b64 exec, exec, s[10:11]
	s_cbranch_execz .LBB24_5
.LBB24_3:                               ; =>This Inner Loop Header: Depth=1
	v_add_u32_e32 v0, s3, v5
	v_cmp_gt_u32_e32 vcc, s16, v0
	s_or_b64 s[12:13], s[12:13], exec
	s_and_saveexec_b64 s[14:15], vcc
	s_cbranch_execz .LBB24_2
; %bb.4:                                ;   in Loop: Header=BB24_3 Depth=1
	v_lshl_add_u64 v[6:7], v[0:1], 1, s[8:9]
	global_load_dwordx4 v[6:9], v[6:7], off
	s_addk_i32 s3, 0x2000
	s_cmp_ge_u32 s3, s16
	s_cselect_b64 s[18:19], -1, 0
	s_andn2_b64 s[12:13], s[12:13], exec
	s_and_b64 s[18:19], s[18:19], exec
	s_or_b64 s[12:13], s[12:13], s[18:19]
	s_waitcnt vmcnt(0)
	ds_write_b128 v4, v[6:9]
	v_add_u32_e32 v4, 0x4000, v4
	s_branch .LBB24_2
.LBB24_5:
	s_or_b64 exec, exec, s[10:11]
.LBB24_6:
	s_load_dwordx2 s[14:15], s[0:1], 0x20
	s_add_i32 s23, s7, -2
	v_mov_b32_e32 v0, s23
	s_waitcnt lgkmcnt(0)
	s_barrier
	s_mul_i32 s2, s2, s14
	v_add_lshl_u32 v1, s2, v3, 1
	v_add_u32_e32 v4, 2, v1
	v_cmp_le_u32_e32 vcc, s7, v1
	v_cmp_gt_u32_e64 s[2:3], s7, v4
	s_or_b64 vcc, vcc, s[2:3]
	v_cndmask_b32_e32 v50, v0, v1, vcc
	v_cmp_gt_u32_e32 vcc, s14, v3
	v_cmp_gt_u32_e64 s[2:3], s7, v50
	s_and_b64 s[2:3], vcc, s[2:3]
	s_and_saveexec_b64 s[10:11], s[2:3]
	s_cbranch_execz .LBB24_63
; %bb.7:
	s_load_dwordx2 s[10:11], s[0:1], 0x8
	s_load_dwordx2 s[12:13], s[0:1], 0x18
	s_mul_i32 s2, s14, s15
	v_cndmask_b32_e64 v0, 0, 1, s[4:5]
	v_cmp_eq_u32_e64 s[0:1], 63, v2
	s_lshl_b32 s24, s2, 1
	s_ashr_i32 s15, s6, 31
	s_mov_b32 s14, s6
	v_add_u32_e32 v60, s6, v48
	s_mov_b64 s[16:17], 0
	v_cmp_ne_u32_e64 s[2:3], 1, v0
	v_mov_b32_e32 v53, 0
	s_movk_i32 s25, 0x7fff
	s_mov_b32 s26, 0x7f800000
                                        ; implicit-def: $vgpr30_vgpr31
                                        ; implicit-def: $vgpr26_vgpr27
                                        ; implicit-def: $vgpr2_vgpr3
                                        ; implicit-def: $vgpr6_vgpr7
                                        ; implicit-def: $vgpr8_vgpr9_vgpr10_vgpr11
                                        ; implicit-def: $vgpr12_vgpr13_vgpr14_vgpr15
                                        ; implicit-def: $vgpr16_vgpr17_vgpr18_vgpr19
                                        ; implicit-def: $vgpr20_vgpr21_vgpr22_vgpr23
	s_branch .LBB24_10
.LBB24_8:                               ;   in Loop: Header=BB24_10 Depth=1
	s_or_b64 exec, exec, s[18:19]
	v_add_u32_e32 v52, 1, v52
	v_lshl_add_u64 v[34:35], v[52:53], 1, s[12:13]
	global_store_short_d16_hi v[34:35], v33, off
.LBB24_9:                               ;   in Loop: Header=BB24_10 Depth=1
	s_or_b64 exec, exec, s[4:5]
	v_add_u32_e32 v32, s24, v50
	v_add_u32_e32 v33, 2, v32
	v_cmp_le_u32_e32 vcc, s7, v32
	v_cmp_gt_u32_e64 s[4:5], s7, v33
	v_mov_b32_e32 v33, s23
	s_or_b64 vcc, vcc, s[4:5]
	v_cndmask_b32_e32 v50, v33, v32, vcc
	v_cmp_le_u32_e32 vcc, s7, v50
	s_or_b64 s[16:17], vcc, s[16:17]
	s_andn2_b64 exec, exec, s[16:17]
	s_cbranch_execz .LBB24_63
.LBB24_10:                              ; =>This Loop Header: Depth=1
                                        ;     Child Loop BB24_14 Depth 2
	s_and_b64 vcc, exec, s[2:3]
	s_cbranch_vccnz .LBB24_45
; %bb.11:                               ;   in Loop: Header=BB24_10 Depth=1
	v_mov_b32_e32 v32, 0
	v_mad_u64_u32 v[54:55], s[4:5], v50, s6, v[48:49]
	s_mov_b32 s27, 0
	v_mov_b32_e32 v51, v49
	v_mov_b32_e32 v33, v32
	;; [unrolled: 1-line block ×16, first 2 shown]
	s_branch .LBB24_14
.LBB24_12:                              ;   in Loop: Header=BB24_14 Depth=2
	s_or_b64 exec, exec, s[18:19]
.LBB24_13:                              ;   in Loop: Header=BB24_14 Depth=2
	s_or_b64 exec, exec, s[4:5]
	s_addk_i32 s27, 0x400
	s_cmp_ge_u32 s27, s6
	v_add_u32_e32 v51, 0x800, v51
	s_cbranch_scc1 .LBB24_46
.LBB24_14:                              ;   Parent Loop BB24_10 Depth=1
                                        ; =>  This Inner Loop Header: Depth=2
	v_add_u32_e32 v58, s27, v48
	v_cmp_gt_u32_e32 vcc, s6, v58
	v_add_u32_e32 v56, 0x200, v58
	s_and_saveexec_b64 s[18:19], vcc
	s_cbranch_execnz .LBB24_18
; %bb.15:                               ;   in Loop: Header=BB24_14 Depth=2
	s_or_b64 exec, exec, s[18:19]
	s_and_saveexec_b64 s[18:19], vcc
	s_cbranch_execnz .LBB24_21
.LBB24_16:                              ;   in Loop: Header=BB24_14 Depth=2
	s_or_b64 exec, exec, s[18:19]
	s_and_saveexec_b64 s[18:19], vcc
	s_cbranch_execnz .LBB24_40
.LBB24_17:                              ;   in Loop: Header=BB24_14 Depth=2
	s_or_b64 exec, exec, s[18:19]
	s_and_saveexec_b64 s[4:5], vcc
	s_cbranch_execz .LBB24_13
	s_branch .LBB24_43
.LBB24_18:                              ;   in Loop: Header=BB24_14 Depth=2
	v_add_u32_e32 v52, s27, v54
	s_waitcnt lgkmcnt(0)
	v_lshl_add_u64 v[62:63], v[52:53], 1, s[10:11]
	v_lshl_add_u64 v[64:65], s[14:15], 1, v[62:63]
	global_load_dwordx4 v[20:23], v[62:63], off nt
	global_load_dwordx4 v[12:15], v[64:65], off nt
	v_cmp_gt_u32_e64 s[4:5], s6, v56
	s_and_saveexec_b64 s[20:21], s[4:5]
	s_cbranch_execz .LBB24_20
; %bb.19:                               ;   in Loop: Header=BB24_14 Depth=2
	v_add_u32_e32 v52, 0x200, v52
	v_lshl_add_u64 v[62:63], v[52:53], 1, s[10:11]
	v_lshl_add_u64 v[64:65], s[14:15], 1, v[62:63]
	global_load_dwordx4 v[16:19], v[62:63], off nt
	global_load_dwordx4 v[8:11], v[64:65], off nt
.LBB24_20:                              ;   in Loop: Header=BB24_14 Depth=2
	s_or_b64 exec, exec, s[20:21]
	s_or_b64 exec, exec, s[18:19]
	s_and_saveexec_b64 s[18:19], vcc
	s_cbranch_execz .LBB24_16
.LBB24_21:                              ;   in Loop: Header=BB24_14 Depth=2
	v_cmp_lt_u32_e64 s[4:5], s25, v58
                                        ; implicit-def: $vgpr4_vgpr5
	s_and_saveexec_b64 s[20:21], s[4:5]
	s_xor_b64 s[4:5], exec, s[20:21]
	s_cbranch_execz .LBB24_23
; %bb.22:                               ;   in Loop: Header=BB24_14 Depth=2
	v_mov_b32_e32 v59, v53
	s_waitcnt vmcnt(0) lgkmcnt(0)
	v_lshl_add_u64 v[4:5], v[58:59], 1, s[8:9]
	global_load_dwordx4 v[4:7], v[4:5], off
.LBB24_23:                              ;   in Loop: Header=BB24_14 Depth=2
	s_andn2_saveexec_b64 s[4:5], s[4:5]
	s_cbranch_execz .LBB24_25
; %bb.24:                               ;   in Loop: Header=BB24_14 Depth=2
	s_waitcnt vmcnt(0) lgkmcnt(0)
	ds_read_b128 v[4:7], v51
.LBB24_25:                              ;   in Loop: Header=BB24_14 Depth=2
	s_or_b64 exec, exec, s[4:5]
	v_add_u32_e32 v52, s27, v60
	v_cmp_lt_u32_e64 s[4:5], s25, v52
                                        ; implicit-def: $vgpr24_vgpr25
	s_and_saveexec_b64 s[20:21], s[4:5]
	s_xor_b64 s[4:5], exec, s[20:21]
	s_cbranch_execnz .LBB24_28
; %bb.26:                               ;   in Loop: Header=BB24_14 Depth=2
	s_andn2_saveexec_b64 s[4:5], s[4:5]
	s_cbranch_execnz .LBB24_29
.LBB24_27:                              ;   in Loop: Header=BB24_14 Depth=2
	s_or_b64 exec, exec, s[4:5]
	v_cmp_gt_u32_e64 s[4:5], s6, v56
	s_and_saveexec_b64 s[20:21], s[4:5]
	s_cbranch_execnz .LBB24_30
	s_branch .LBB24_39
.LBB24_28:                              ;   in Loop: Header=BB24_14 Depth=2
	s_waitcnt vmcnt(0) lgkmcnt(0)
	v_lshl_add_u64 v[24:25], v[52:53], 1, s[8:9]
	global_load_dwordx4 v[24:27], v[24:25], off
	s_andn2_saveexec_b64 s[4:5], s[4:5]
	s_cbranch_execz .LBB24_27
.LBB24_29:                              ;   in Loop: Header=BB24_14 Depth=2
	s_waitcnt vmcnt(0) lgkmcnt(0)
	v_add_u32_e32 v24, s22, v51
	ds_read_b128 v[24:27], v24
	s_or_b64 exec, exec, s[4:5]
	v_cmp_gt_u32_e64 s[4:5], s6, v56
	s_and_saveexec_b64 s[20:21], s[4:5]
	s_cbranch_execz .LBB24_39
.LBB24_30:                              ;   in Loop: Header=BB24_14 Depth=2
	v_cmp_lt_u32_e64 s[4:5], s25, v56
                                        ; implicit-def: $vgpr0_vgpr1
	s_and_saveexec_b64 s[28:29], s[4:5]
	s_xor_b64 s[4:5], exec, s[28:29]
	s_cbranch_execz .LBB24_32
; %bb.31:                               ;   in Loop: Header=BB24_14 Depth=2
	v_mov_b32_e32 v57, v53
	s_waitcnt vmcnt(0) lgkmcnt(0)
	v_lshl_add_u64 v[0:1], v[56:57], 1, s[8:9]
	global_load_dwordx4 v[0:3], v[0:1], off
.LBB24_32:                              ;   in Loop: Header=BB24_14 Depth=2
	s_andn2_saveexec_b64 s[4:5], s[4:5]
	s_cbranch_execz .LBB24_34
; %bb.33:                               ;   in Loop: Header=BB24_14 Depth=2
	s_waitcnt vmcnt(0) lgkmcnt(0)
	ds_read_b128 v[0:3], v51 offset:1024
.LBB24_34:                              ;   in Loop: Header=BB24_14 Depth=2
	s_or_b64 exec, exec, s[4:5]
	v_add_u32_e32 v52, 0x200, v52
	v_cmp_lt_u32_e64 s[4:5], s25, v52
                                        ; implicit-def: $vgpr28_vgpr29
	s_and_saveexec_b64 s[28:29], s[4:5]
	s_xor_b64 s[4:5], exec, s[28:29]
	s_cbranch_execz .LBB24_36
; %bb.35:                               ;   in Loop: Header=BB24_14 Depth=2
	s_waitcnt vmcnt(0) lgkmcnt(0)
	v_lshl_add_u64 v[28:29], v[52:53], 1, s[8:9]
	global_load_dwordx4 v[28:31], v[28:29], off
.LBB24_36:                              ;   in Loop: Header=BB24_14 Depth=2
	s_andn2_saveexec_b64 s[4:5], s[4:5]
	s_cbranch_execz .LBB24_38
; %bb.37:                               ;   in Loop: Header=BB24_14 Depth=2
	s_waitcnt vmcnt(0) lgkmcnt(0)
	v_add_u32_e32 v28, s22, v51
	ds_read_b128 v[28:31], v28 offset:1024
.LBB24_38:                              ;   in Loop: Header=BB24_14 Depth=2
	s_or_b64 exec, exec, s[4:5]
.LBB24_39:                              ;   in Loop: Header=BB24_14 Depth=2
	s_or_b64 exec, exec, s[20:21]
	s_or_b64 exec, exec, s[18:19]
	s_and_saveexec_b64 s[18:19], vcc
	s_cbranch_execz .LBB24_17
.LBB24_40:                              ;   in Loop: Header=BB24_14 Depth=2
	s_waitcnt vmcnt(0) lgkmcnt(0)
	v_mfma_f32_4x4x4_16b_bf16 v[44:47], v[4:5], v[20:21], v[44:47]
	v_cmp_gt_u32_e64 s[4:5], s6, v56
	v_mfma_f32_4x4x4_16b_bf16 v[40:43], v[4:5], v[12:13], v[40:43]
	v_mfma_f32_4x4x4_16b_bf16 v[44:47], v[6:7], v[22:23], v[44:47]
	s_nop 0
	v_mfma_f32_4x4x4_16b_bf16 v[40:43], v[6:7], v[14:15], v[40:43]
	s_and_saveexec_b64 s[20:21], s[4:5]
; %bb.41:                               ;   in Loop: Header=BB24_14 Depth=2
	v_mfma_f32_4x4x4_16b_bf16 v[44:47], v[0:1], v[16:17], v[44:47]
	v_mfma_f32_4x4x4_16b_bf16 v[40:43], v[0:1], v[8:9], v[40:43]
	s_nop 0
	v_mfma_f32_4x4x4_16b_bf16 v[44:47], v[2:3], v[18:19], v[44:47]
	v_mfma_f32_4x4x4_16b_bf16 v[40:43], v[2:3], v[10:11], v[40:43]
; %bb.42:                               ;   in Loop: Header=BB24_14 Depth=2
	s_or_b64 exec, exec, s[20:21]
	s_or_b64 exec, exec, s[18:19]
	s_and_saveexec_b64 s[4:5], vcc
	s_cbranch_execz .LBB24_13
.LBB24_43:                              ;   in Loop: Header=BB24_14 Depth=2
	s_waitcnt vmcnt(0) lgkmcnt(0)
	v_mfma_f32_4x4x4_16b_bf16 v[36:39], v[24:25], v[20:21], v[36:39]
	v_cmp_gt_u32_e32 vcc, s6, v56
	v_mfma_f32_4x4x4_16b_bf16 v[32:35], v[24:25], v[12:13], v[32:35]
	v_mfma_f32_4x4x4_16b_bf16 v[36:39], v[26:27], v[22:23], v[36:39]
	s_nop 0
	v_mfma_f32_4x4x4_16b_bf16 v[32:35], v[26:27], v[14:15], v[32:35]
	s_and_saveexec_b64 s[18:19], vcc
	s_cbranch_execz .LBB24_12
; %bb.44:                               ;   in Loop: Header=BB24_14 Depth=2
	v_mfma_f32_4x4x4_16b_bf16 v[36:39], v[28:29], v[16:17], v[36:39]
	v_mfma_f32_4x4x4_16b_bf16 v[32:35], v[28:29], v[8:9], v[32:35]
	s_nop 0
	v_mfma_f32_4x4x4_16b_bf16 v[36:39], v[30:31], v[18:19], v[36:39]
	v_mfma_f32_4x4x4_16b_bf16 v[32:35], v[30:31], v[10:11], v[32:35]
	s_branch .LBB24_12
.LBB24_45:                              ;   in Loop: Header=BB24_10 Depth=1
	v_mov_b32_e32 v47, v53
	v_mov_b32_e32 v46, v53
	;; [unrolled: 1-line block ×16, first 2 shown]
.LBB24_46:                              ;   in Loop: Header=BB24_10 Depth=1
	;;#ASMSTART
	s_nop 0
	v_add_f32 v44, v45, v44 row_shl:1 bound_ctrl:0 
	;;#ASMEND
	;;#ASMSTART
	s_nop 0
	v_add_f32 v40, v41, v40 row_shl:1 bound_ctrl:0 
	;;#ASMEND
	;;#ASMSTART
	s_nop 0
	v_add_f32 v36, v37, v36 row_shl:1 bound_ctrl:0 
	;;#ASMEND
	;;#ASMSTART
	s_nop 0
	v_add_f32 v32, v33, v32 row_shl:1 bound_ctrl:0 
	;;#ASMEND
	s_nop 0
	;;#ASMSTART
	s_nop 0
	v_add_f32 v44, v46, v44 row_shl:2 bound_ctrl:0 
	;;#ASMEND
	;;#ASMSTART
	s_nop 0
	v_add_f32 v40, v42, v40 row_shl:2 bound_ctrl:0 
	;;#ASMEND
	;;#ASMSTART
	s_nop 0
	v_add_f32 v36, v38, v36 row_shl:2 bound_ctrl:0 
	;;#ASMEND
	;;#ASMSTART
	s_nop 0
	v_add_f32 v32, v34, v32 row_shl:2 bound_ctrl:0 
	;;#ASMEND
	s_nop 0
	;; [unrolled: 17-line block ×5, first 2 shown]
	;;#ASMSTART
	s_nop 0
	v_mov_b32 v44, v44 row_shr:15 bound_ctrl:0 
	;;#ASMEND
	;;#ASMSTART
	s_nop 0
	v_mov_b32 v40, v40 row_shr:15 bound_ctrl:0 
	;;#ASMEND
	;; [unrolled: 4-line block ×4, first 2 shown]
	s_nop 0
	;;#ASMSTART
	s_nop 0
	v_add_f32 v44, v44, v44 row_bcast:15 bound_ctrl:0
	;;#ASMEND
	;;#ASMSTART
	s_nop 0
	v_add_f32 v40, v40, v40 row_bcast:15 bound_ctrl:0
	;;#ASMEND
	;;#ASMSTART
	s_nop 0
	v_add_f32 v36, v36, v36 row_bcast:15 bound_ctrl:0
	;;#ASMEND
	;;#ASMSTART
	s_nop 0
	v_add_f32 v32, v32, v32 row_bcast:15 bound_ctrl:0
	;;#ASMEND
	s_nop 0
	;;#ASMSTART
	s_nop 0
	v_add_f32 v44, v44, v44 row_bcast:31 bound_ctrl:0
	;;#ASMEND
	;;#ASMSTART
	s_nop 0
	v_add_f32 v40, v40, v40 row_bcast:31 bound_ctrl:0
	;;#ASMEND
	;; [unrolled: 4-line block ×4, first 2 shown]
	s_and_saveexec_b64 s[4:5], s[0:1]
	s_cbranch_execz .LBB24_9
; %bb.47:                               ;   in Loop: Header=BB24_10 Depth=1
	v_and_b32_e32 v33, 0x7f800000, v44
	v_cmp_ne_u32_e32 vcc, s26, v33
                                        ; implicit-def: $vgpr33
	s_and_saveexec_b64 s[18:19], vcc
	s_xor_b64 s[18:19], exec, s[18:19]
; %bb.48:                               ;   in Loop: Header=BB24_10 Depth=1
	v_bfe_u32 v33, v44, 16, 1
	v_add3_u32 v33, v44, v33, s25
                                        ; implicit-def: $vgpr44
; %bb.49:                               ;   in Loop: Header=BB24_10 Depth=1
	s_andn2_saveexec_b64 s[18:19], s[18:19]
; %bb.50:                               ;   in Loop: Header=BB24_10 Depth=1
	v_or_b32_e32 v33, 0x10000, v44
	v_cmp_eq_u32_sdwa vcc, v44, v53 src0_sel:WORD_0 src1_sel:DWORD
	s_nop 1
	v_cndmask_b32_e32 v33, v33, v44, vcc
; %bb.51:                               ;   in Loop: Header=BB24_10 Depth=1
	s_or_b64 exec, exec, s[18:19]
	v_mov_b32_e32 v51, v53
	s_waitcnt lgkmcnt(0)
	v_lshl_add_u64 v[34:35], v[50:51], 1, s[12:13]
	global_store_short_d16_hi v[34:35], v33, off
	v_and_b32_e32 v33, 0x7f800000, v40
	v_cmp_ne_u32_e32 vcc, s26, v33
                                        ; implicit-def: $vgpr33
	s_and_saveexec_b64 s[18:19], vcc
	s_xor_b64 s[18:19], exec, s[18:19]
; %bb.52:                               ;   in Loop: Header=BB24_10 Depth=1
	v_bfe_u32 v33, v40, 16, 1
	v_add3_u32 v33, v40, v33, s25
                                        ; implicit-def: $vgpr40
; %bb.53:                               ;   in Loop: Header=BB24_10 Depth=1
	s_andn2_saveexec_b64 s[18:19], s[18:19]
; %bb.54:                               ;   in Loop: Header=BB24_10 Depth=1
	v_or_b32_e32 v33, 0x10000, v40
	v_cmp_eq_u32_sdwa vcc, v40, v53 src0_sel:WORD_0 src1_sel:DWORD
	s_nop 1
	v_cndmask_b32_e32 v33, v33, v40, vcc
; %bb.55:                               ;   in Loop: Header=BB24_10 Depth=1
	s_or_b64 exec, exec, s[18:19]
	v_add_u32_e32 v52, 1, v50
	v_lshl_add_u64 v[34:35], v[52:53], 1, s[12:13]
	global_store_short_d16_hi v[34:35], v33, off
	v_and_b32_e32 v33, 0x7f800000, v36
	v_cmp_ne_u32_e32 vcc, s26, v33
                                        ; implicit-def: $vgpr33
	s_and_saveexec_b64 s[18:19], vcc
	s_xor_b64 s[18:19], exec, s[18:19]
; %bb.56:                               ;   in Loop: Header=BB24_10 Depth=1
	v_bfe_u32 v33, v36, 16, 1
	v_add3_u32 v33, v36, v33, s25
                                        ; implicit-def: $vgpr36
; %bb.57:                               ;   in Loop: Header=BB24_10 Depth=1
	s_andn2_saveexec_b64 s[18:19], s[18:19]
; %bb.58:                               ;   in Loop: Header=BB24_10 Depth=1
	v_or_b32_e32 v33, 0x10000, v36
	v_cmp_eq_u32_sdwa vcc, v36, v53 src0_sel:WORD_0 src1_sel:DWORD
	s_nop 1
	v_cndmask_b32_e32 v33, v33, v36, vcc
; %bb.59:                               ;   in Loop: Header=BB24_10 Depth=1
	s_or_b64 exec, exec, s[18:19]
	v_add_u32_e32 v52, s7, v50
	v_lshl_add_u64 v[34:35], v[52:53], 1, s[12:13]
	global_store_short_d16_hi v[34:35], v33, off
	v_and_b32_e32 v33, 0x7f800000, v32
	v_cmp_ne_u32_e32 vcc, s26, v33
                                        ; implicit-def: $vgpr33
	s_and_saveexec_b64 s[18:19], vcc
	s_xor_b64 s[18:19], exec, s[18:19]
; %bb.60:                               ;   in Loop: Header=BB24_10 Depth=1
	v_bfe_u32 v33, v32, 16, 1
	v_add3_u32 v33, v32, v33, s25
                                        ; implicit-def: $vgpr32
; %bb.61:                               ;   in Loop: Header=BB24_10 Depth=1
	s_andn2_saveexec_b64 s[18:19], s[18:19]
	s_cbranch_execz .LBB24_8
; %bb.62:                               ;   in Loop: Header=BB24_10 Depth=1
	v_or_b32_e32 v33, 0x10000, v32
	v_cmp_eq_u32_sdwa vcc, v32, v53 src0_sel:WORD_0 src1_sel:DWORD
	s_nop 1
	v_cndmask_b32_e32 v33, v33, v32, vcc
	s_branch .LBB24_8
.LBB24_63:
	s_endpgm
	.section	.rodata,"a",@progbits
	.p2align	6, 0x0
	.amdhsa_kernel _Z12wvSplitK_hf_I14__hip_bfloat16Li64ELi2ELi16ELi8ELi2ELi2EEviiPKT_S3_PS1_ii
		.amdhsa_group_segment_fixed_size 65536
		.amdhsa_private_segment_fixed_size 0
		.amdhsa_kernarg_size 40
		.amdhsa_user_sgpr_count 2
		.amdhsa_user_sgpr_dispatch_ptr 0
		.amdhsa_user_sgpr_queue_ptr 0
		.amdhsa_user_sgpr_kernarg_segment_ptr 1
		.amdhsa_user_sgpr_dispatch_id 0
		.amdhsa_user_sgpr_kernarg_preload_length 0
		.amdhsa_user_sgpr_kernarg_preload_offset 0
		.amdhsa_user_sgpr_private_segment_size 0
		.amdhsa_uses_dynamic_stack 0
		.amdhsa_enable_private_segment 0
		.amdhsa_system_sgpr_workgroup_id_x 1
		.amdhsa_system_sgpr_workgroup_id_y 0
		.amdhsa_system_sgpr_workgroup_id_z 0
		.amdhsa_system_sgpr_workgroup_info 0
		.amdhsa_system_vgpr_workitem_id 1
		.amdhsa_next_free_vgpr 66
		.amdhsa_next_free_sgpr 30
		.amdhsa_accum_offset 68
		.amdhsa_reserve_vcc 1
		.amdhsa_float_round_mode_32 0
		.amdhsa_float_round_mode_16_64 0
		.amdhsa_float_denorm_mode_32 3
		.amdhsa_float_denorm_mode_16_64 3
		.amdhsa_dx10_clamp 1
		.amdhsa_ieee_mode 1
		.amdhsa_fp16_overflow 0
		.amdhsa_tg_split 0
		.amdhsa_exception_fp_ieee_invalid_op 0
		.amdhsa_exception_fp_denorm_src 0
		.amdhsa_exception_fp_ieee_div_zero 0
		.amdhsa_exception_fp_ieee_overflow 0
		.amdhsa_exception_fp_ieee_underflow 0
		.amdhsa_exception_fp_ieee_inexact 0
		.amdhsa_exception_int_div_zero 0
	.end_amdhsa_kernel
	.section	.text._Z12wvSplitK_hf_I14__hip_bfloat16Li64ELi2ELi16ELi8ELi2ELi2EEviiPKT_S3_PS1_ii,"axG",@progbits,_Z12wvSplitK_hf_I14__hip_bfloat16Li64ELi2ELi16ELi8ELi2ELi2EEviiPKT_S3_PS1_ii,comdat
.Lfunc_end24:
	.size	_Z12wvSplitK_hf_I14__hip_bfloat16Li64ELi2ELi16ELi8ELi2ELi2EEviiPKT_S3_PS1_ii, .Lfunc_end24-_Z12wvSplitK_hf_I14__hip_bfloat16Li64ELi2ELi16ELi8ELi2ELi2EEviiPKT_S3_PS1_ii
                                        ; -- End function
	.section	.AMDGPU.csdata,"",@progbits
; Kernel info:
; codeLenInByte = 2256
; NumSgprs: 36
; NumVgprs: 66
; NumAgprs: 0
; TotalNumVgprs: 66
; ScratchSize: 0
; MemoryBound: 1
; FloatMode: 240
; IeeeMode: 1
; LDSByteSize: 65536 bytes/workgroup (compile time only)
; SGPRBlocks: 4
; VGPRBlocks: 8
; NumSGPRsForWavesPerEU: 36
; NumVGPRsForWavesPerEU: 66
; AccumOffset: 68
; Occupancy: 4
; WaveLimiterHint : 0
; COMPUTE_PGM_RSRC2:SCRATCH_EN: 0
; COMPUTE_PGM_RSRC2:USER_SGPR: 2
; COMPUTE_PGM_RSRC2:TRAP_HANDLER: 0
; COMPUTE_PGM_RSRC2:TGID_X_EN: 1
; COMPUTE_PGM_RSRC2:TGID_Y_EN: 0
; COMPUTE_PGM_RSRC2:TGID_Z_EN: 0
; COMPUTE_PGM_RSRC2:TIDIG_COMP_CNT: 1
; COMPUTE_PGM_RSRC3_GFX90A:ACCUM_OFFSET: 16
; COMPUTE_PGM_RSRC3_GFX90A:TG_SPLIT: 0
	.section	.text._Z16wvSplitK_hf_big_I14__hip_bfloat16Li64ELi2ELi16ELi8ELi2ELi2EEviiPKT_S3_PS1_ii,"axG",@progbits,_Z16wvSplitK_hf_big_I14__hip_bfloat16Li64ELi2ELi16ELi8ELi2ELi2EEviiPKT_S3_PS1_ii,comdat
	.protected	_Z16wvSplitK_hf_big_I14__hip_bfloat16Li64ELi2ELi16ELi8ELi2ELi2EEviiPKT_S3_PS1_ii ; -- Begin function _Z16wvSplitK_hf_big_I14__hip_bfloat16Li64ELi2ELi16ELi8ELi2ELi2EEviiPKT_S3_PS1_ii
	.globl	_Z16wvSplitK_hf_big_I14__hip_bfloat16Li64ELi2ELi16ELi8ELi2ELi2EEviiPKT_S3_PS1_ii
	.p2align	8
	.type	_Z16wvSplitK_hf_big_I14__hip_bfloat16Li64ELi2ELi16ELi8ELi2ELi2EEviiPKT_S3_PS1_ii,@function
_Z16wvSplitK_hf_big_I14__hip_bfloat16Li64ELi2ELi16ELi8ELi2ELi2EEviiPKT_S3_PS1_ii: ; @_Z16wvSplitK_hf_big_I14__hip_bfloat16Li64ELi2ELi16ELi8ELi2ELi2EEviiPKT_S3_PS1_ii
; %bb.0:
	s_load_dwordx2 s[4:5], s[0:1], 0x20
	v_bfe_u32 v1, v0, 10, 10
	s_waitcnt lgkmcnt(0)
	v_cmp_gt_u32_e32 vcc, s4, v1
	s_and_saveexec_b64 s[6:7], vcc
	s_cbranch_execz .LBB25_52
; %bb.1:
	s_lshl_b32 s6, s4, 1
	s_abs_i32 s7, s6
	v_cvt_f32_u32_e32 v3, s7
	s_load_dwordx2 s[10:11], s[0:1], 0x0
	s_mul_i32 s2, s2, s4
	v_add_lshl_u32 v2, s2, v1, 1
	v_rcp_iflag_f32_e32 v3, v3
	v_add_u32_e32 v4, 2, v2
	s_waitcnt lgkmcnt(0)
	v_cmp_le_u32_e32 vcc, s11, v2
	v_cmp_gt_u32_e64 s[2:3], s11, v4
	s_add_i32 s28, s11, -2
	v_mov_b32_e32 v4, s28
	s_or_b64 vcc, vcc, s[2:3]
	v_cndmask_b32_e32 v48, v4, v2, vcc
	v_mul_f32_e32 v2, 0x4f7ffffe, v3
	v_cvt_u32_f32_e32 v2, v2
	s_sub_i32 s8, 0, s7
	s_abs_i32 s3, s11
	s_ashr_i32 s2, s11, 31
	v_readfirstlane_b32 s9, v2
	s_mul_i32 s8, s8, s9
	s_mul_hi_u32 s8, s9, s8
	s_add_i32 s9, s9, s8
	s_mul_hi_u32 s8, s3, s9
	s_mul_i32 s8, s8, s7
	s_sub_i32 s3, s3, s8
	s_sub_i32 s8, s3, s7
	s_cmp_ge_u32 s3, s7
	s_cselect_b32 s3, s8, s3
	s_sub_i32 s8, s3, s7
	s_cmp_ge_u32 s3, s7
	s_cselect_b32 s3, s8, s3
	s_xor_b32 s3, s3, s2
	s_sub_i32 s2, s3, s2
	s_add_i32 s6, s6, s11
	s_sub_i32 s3, s6, s2
	s_cmp_eq_u32 s2, 0
	s_cselect_b32 s29, s11, s3
	v_cmp_gt_u32_e32 vcc, s29, v48
	s_and_b64 exec, exec, vcc
	s_cbranch_execz .LBB25_52
; %bb.2:
	s_mov_b32 s2, 0
	v_cvt_f64_i32_e32 v[2:3], s10
	s_mov_b32 s3, 0x40d00000
	v_min_f64 v[2:3], v[2:3], s[2:3]
	s_load_dwordx4 s[12:15], s[0:1], 0x8
	s_load_dwordx2 s[16:17], s[0:1], 0x18
	s_cmp_lg_u32 s10, 0
	v_and_b32_e32 v0, 0x3ff, v0
	s_mul_i32 s0, s5, s4
	v_cvt_u32_f64_e32 v2, v[2:3]
	v_lshlrev_b32_e32 v52, 3, v0
	s_cselect_b64 s[2:3], -1, 0
	s_lshl_b32 s33, s0, 1
	v_cmp_eq_u32_e64 s[0:1], 63, v0
	v_lshlrev_b32_e32 v0, 4, v0
	v_lshl_add_u32 v54, v1, 10, v0
	v_cndmask_b32_e64 v0, 0, 1, s[2:3]
	v_cmp_ne_u32_e32 vcc, 0, v2
	v_lshl_add_u32 v55, v1, 9, v52
	v_cmp_ne_u32_e64 s[2:3], 1, v0
	v_cndmask_b32_e64 v0, 0, 1, vcc
	v_readfirstlane_b32 s30, v2
	s_lshl_b32 s31, s4, 9
	s_ashr_i32 s19, s10, 31
	s_mov_b32 s18, s10
	v_lshlrev_b32_e32 v53, 1, v2
	s_lshl_b32 s34, s4, 10
	v_add_u32_e32 v56, s10, v55
	s_mov_b64 s[20:21], 0
	v_mov_b32_e32 v51, 0
	s_mov_b32 s35, 0x7f800000
	s_movk_i32 s36, 0x7fff
	v_cmp_ne_u32_e64 s[4:5], 1, v0
                                        ; implicit-def: $vgpr14_vgpr15
                                        ; implicit-def: $vgpr6_vgpr7
                                        ; implicit-def: $vgpr2_vgpr3
                                        ; implicit-def: $vgpr10_vgpr11
                                        ; implicit-def: $vgpr16_vgpr17_vgpr18_vgpr19
                                        ; implicit-def: $vgpr24_vgpr25_vgpr26_vgpr27
                                        ; implicit-def: $vgpr20_vgpr21_vgpr22_vgpr23
                                        ; implicit-def: $vgpr28_vgpr29_vgpr30_vgpr31
	s_branch .LBB25_6
.LBB25_3:                               ;   in Loop: Header=BB25_6 Depth=1
	s_or_b64 exec, exec, s[22:23]
	v_add_u32_e32 v50, 1, v50
	v_lshl_add_u64 v[34:35], v[50:51], 1, s[16:17]
	global_store_short_d16_hi v[34:35], v33, off
.LBB25_4:                               ;   in Loop: Header=BB25_6 Depth=1
	s_or_b64 exec, exec, s[6:7]
	v_add_u32_e32 v32, s33, v48
	v_add_u32_e32 v33, 2, v32
	v_cmp_le_u32_e32 vcc, s11, v32
	v_cmp_gt_u32_e64 s[6:7], s11, v33
	v_mov_b32_e32 v33, s28
	s_or_b64 vcc, vcc, s[6:7]
	v_cndmask_b32_e32 v48, v33, v32, vcc
.LBB25_5:                               ;   in Loop: Header=BB25_6 Depth=1
	s_or_b64 exec, exec, s[8:9]
	v_cmp_le_u32_e32 vcc, s29, v48
	s_or_b64 s[20:21], vcc, s[20:21]
	s_andn2_b64 exec, exec, s[20:21]
	s_cbranch_execz .LBB25_52
.LBB25_6:                               ; =>This Loop Header: Depth=1
                                        ;     Child Loop BB25_11 Depth 2
                                        ;       Child Loop BB25_15 Depth 3
	s_and_b64 vcc, exec, s[2:3]
	s_cbranch_vccnz .LBB25_31
; %bb.7:                                ;   in Loop: Header=BB25_6 Depth=1
	v_mov_b32_e32 v32, 0
	v_cmp_gt_u32_e64 s[6:7], s11, v48
	v_mul_lo_u32 v49, v48, s10
	s_mov_b32 s37, 0
	s_mov_b32 s38, 0
	v_mov_b32_e32 v33, v32
	v_mov_b32_e32 v34, v32
	;; [unrolled: 1-line block ×15, first 2 shown]
	s_branch .LBB25_11
.LBB25_8:                               ;   in Loop: Header=BB25_11 Depth=2
	s_or_b64 exec, exec, s[24:25]
.LBB25_9:                               ;   in Loop: Header=BB25_11 Depth=2
	s_or_b64 exec, exec, s[8:9]
.LBB25_10:                              ;   in Loop: Header=BB25_11 Depth=2
	s_or_b64 exec, exec, s[22:23]
	s_addk_i32 s38, 0x400
	s_cmp_ge_u32 s38, s10
	s_cbranch_scc1 .LBB25_32
.LBB25_11:                              ;   Parent Loop BB25_6 Depth=1
                                        ; =>  This Loop Header: Depth=2
                                        ;       Child Loop BB25_15 Depth 3
	s_cmp_eq_u32 s38, 0
	s_cselect_b64 s[8:9], -1, 0
	s_add_i32 s22, s37, s30
	s_cmp_eq_u32 s38, s22
	s_cselect_b64 s[24:25], -1, 0
	s_or_b64 s[24:25], s[8:9], s[24:25]
	s_andn2_b64 vcc, exec, s[24:25]
	s_cbranch_vccnz .LBB25_19
; %bb.12:                               ;   in Loop: Header=BB25_11 Depth=2
	s_and_b64 s[8:9], s[8:9], exec
	s_cselect_b32 s37, s37, s22
	s_and_b64 vcc, exec, s[4:5]
	s_waitcnt lgkmcnt(0)
	s_barrier
	s_cbranch_vccnz .LBB25_18
; %bb.13:                               ;   in Loop: Header=BB25_11 Depth=2
	v_add_u32_e32 v57, s37, v56
	v_add_u32_e32 v58, s37, v55
	s_mov_b32 s26, 0
	s_mov_b64 s[22:23], 0
	v_mov_b32_e32 v59, v54
                                        ; implicit-def: $sgpr24_sgpr25
	s_branch .LBB25_15
.LBB25_14:                              ;   in Loop: Header=BB25_15 Depth=3
	s_or_b64 exec, exec, s[8:9]
	s_and_b64 s[8:9], exec, s[24:25]
	s_or_b64 s[22:23], s[8:9], s[22:23]
	s_andn2_b64 exec, exec, s[22:23]
	s_cbranch_execz .LBB25_17
.LBB25_15:                              ;   Parent Loop BB25_6 Depth=1
                                        ;     Parent Loop BB25_11 Depth=2
                                        ; =>    This Inner Loop Header: Depth=3
	v_add_u32_e32 v60, s26, v55
	v_add_u32_e32 v50, s26, v58
	v_cmp_gt_u32_e32 vcc, s10, v50
	v_cmp_gt_u32_e64 s[8:9], s30, v60
	s_and_b64 s[40:41], vcc, s[8:9]
	s_or_b64 s[24:25], s[24:25], exec
	s_and_saveexec_b64 s[8:9], s[40:41]
	s_cbranch_execz .LBB25_14
; %bb.16:                               ;   in Loop: Header=BB25_15 Depth=3
	v_lshl_add_u64 v[60:61], v[50:51], 1, s[14:15]
	v_add_u32_e32 v50, s26, v57
	global_load_dwordx4 v[60:63], v[60:61], off
	v_lshl_add_u64 v[64:65], v[50:51], 1, s[14:15]
	global_load_dwordx4 v[64:67], v[64:65], off
	s_add_i32 s26, s26, s31
	s_cmp_ge_u32 s26, s30
	s_cselect_b64 s[40:41], -1, 0
	s_andn2_b64 s[24:25], s[24:25], exec
	s_and_b64 s[40:41], s[40:41], exec
	v_add_u32_e32 v50, v59, v53
	s_or_b64 s[24:25], s[24:25], s[40:41]
	s_waitcnt vmcnt(1)
	ds_write_b128 v59, v[60:63]
	v_add_u32_e32 v59, s34, v59
	s_waitcnt vmcnt(0)
	ds_write2_b64 v50, v[64:65], v[66:67] offset1:1
	s_branch .LBB25_14
.LBB25_17:                              ;   in Loop: Header=BB25_11 Depth=2
	s_or_b64 exec, exec, s[22:23]
.LBB25_18:                              ;   in Loop: Header=BB25_11 Depth=2
	s_waitcnt lgkmcnt(0)
	s_barrier
.LBB25_19:                              ;   in Loop: Header=BB25_11 Depth=2
	s_and_saveexec_b64 s[22:23], s[6:7]
	s_cbranch_execz .LBB25_10
; %bb.20:                               ;   in Loop: Header=BB25_11 Depth=2
	v_add_u32_e32 v57, s38, v52
	v_cmp_gt_u32_e32 vcc, s10, v57
	s_and_saveexec_b64 s[24:25], vcc
	s_cbranch_execnz .LBB25_23
; %bb.21:                               ;   in Loop: Header=BB25_11 Depth=2
	s_or_b64 exec, exec, s[24:25]
	s_and_saveexec_b64 s[24:25], vcc
	s_cbranch_execnz .LBB25_26
.LBB25_22:                              ;   in Loop: Header=BB25_11 Depth=2
	s_or_b64 exec, exec, s[24:25]
	s_and_saveexec_b64 s[8:9], vcc
	s_cbranch_execz .LBB25_9
	s_branch .LBB25_29
.LBB25_23:                              ;   in Loop: Header=BB25_11 Depth=2
	v_add_u32_e32 v50, v57, v49
	s_waitcnt lgkmcnt(0)
	v_lshl_add_u64 v[58:59], v[50:51], 1, s[12:13]
	v_lshl_add_u64 v[60:61], s[18:19], 1, v[58:59]
	global_load_dwordx4 v[28:31], v[58:59], off nt
	global_load_dwordx4 v[24:27], v[60:61], off nt
	v_add_u32_e32 v50, 0x200, v57
	v_cmp_gt_u32_e64 s[8:9], s10, v50
	s_and_saveexec_b64 s[26:27], s[8:9]
	s_cbranch_execz .LBB25_25
; %bb.24:                               ;   in Loop: Header=BB25_11 Depth=2
	v_add_u32_e32 v50, v50, v49
	v_lshl_add_u64 v[58:59], v[50:51], 1, s[12:13]
	v_lshl_add_u64 v[60:61], s[18:19], 1, v[58:59]
	global_load_dwordx4 v[20:23], v[58:59], off nt
	global_load_dwordx4 v[16:19], v[60:61], off nt
.LBB25_25:                              ;   in Loop: Header=BB25_11 Depth=2
	s_or_b64 exec, exec, s[26:27]
	s_or_b64 exec, exec, s[24:25]
	s_and_saveexec_b64 s[24:25], vcc
	s_cbranch_execz .LBB25_22
.LBB25_26:                              ;   in Loop: Header=BB25_11 Depth=2
	s_waitcnt lgkmcnt(0)
	v_subrev_u32_e32 v4, s37, v57
	v_lshlrev_b32_e32 v58, 1, v4
	v_lshl_add_u32 v50, s30, 1, v58
	ds_read_b128 v[8:11], v58
	ds_read_b128 v[4:7], v50
	v_add_u32_e32 v59, 0x200, v57
	v_cmp_gt_u32_e64 s[8:9], s10, v59
	s_and_saveexec_b64 s[26:27], s[8:9]
	s_cbranch_execz .LBB25_28
; %bb.27:                               ;   in Loop: Header=BB25_11 Depth=2
	ds_read_b128 v[0:3], v58 offset:1024
	ds_read_b128 v[12:15], v50 offset:1024
.LBB25_28:                              ;   in Loop: Header=BB25_11 Depth=2
	s_or_b64 exec, exec, s[26:27]
	s_or_b64 exec, exec, s[24:25]
	s_and_saveexec_b64 s[8:9], vcc
	s_cbranch_execz .LBB25_9
.LBB25_29:                              ;   in Loop: Header=BB25_11 Depth=2
	s_waitcnt vmcnt(1) lgkmcnt(0)
	v_mfma_f32_4x4x4_16b_bf16 v[44:47], v[8:9], v[28:29], v[44:47]
	v_add_u32_e32 v50, 0x200, v57
	s_waitcnt vmcnt(0)
	v_mfma_f32_4x4x4_16b_bf16 v[40:43], v[8:9], v[24:25], v[40:43]
	v_cmp_gt_u32_e32 vcc, s10, v50
	v_mfma_f32_4x4x4_16b_bf16 v[36:39], v[4:5], v[28:29], v[36:39]
	v_mfma_f32_4x4x4_16b_bf16 v[32:35], v[4:5], v[24:25], v[32:35]
	;; [unrolled: 1-line block ×6, first 2 shown]
	s_and_saveexec_b64 s[24:25], vcc
	s_cbranch_execz .LBB25_8
; %bb.30:                               ;   in Loop: Header=BB25_11 Depth=2
	v_mfma_f32_4x4x4_16b_bf16 v[44:47], v[0:1], v[20:21], v[44:47]
	v_mfma_f32_4x4x4_16b_bf16 v[40:43], v[0:1], v[16:17], v[40:43]
	;; [unrolled: 1-line block ×8, first 2 shown]
	s_branch .LBB25_8
.LBB25_31:                              ;   in Loop: Header=BB25_6 Depth=1
	v_mov_b32_e32 v47, v51
	v_mov_b32_e32 v46, v51
	v_mov_b32_e32 v45, v51
	v_mov_b32_e32 v44, v51
	v_mov_b32_e32 v43, v51
	v_mov_b32_e32 v42, v51
	v_mov_b32_e32 v41, v51
	v_mov_b32_e32 v40, v51
	v_mov_b32_e32 v39, v51
	v_mov_b32_e32 v38, v51
	v_mov_b32_e32 v37, v51
	v_mov_b32_e32 v36, v51
	v_mov_b32_e32 v35, v51
	v_mov_b32_e32 v34, v51
	v_mov_b32_e32 v33, v51
	v_mov_b32_e32 v32, v51
.LBB25_32:                              ;   in Loop: Header=BB25_6 Depth=1
	v_cmp_le_u32_e32 vcc, s11, v48
	s_and_saveexec_b64 s[6:7], vcc
	s_xor_b64 s[6:7], exec, s[6:7]
; %bb.33:                               ;   in Loop: Header=BB25_6 Depth=1
	v_add_u32_e32 v48, s33, v48
                                        ; implicit-def: $vgpr47
                                        ; implicit-def: $vgpr43
                                        ; implicit-def: $vgpr39
                                        ; implicit-def: $vgpr35
; %bb.34:                               ;   in Loop: Header=BB25_6 Depth=1
	s_andn2_saveexec_b64 s[8:9], s[6:7]
	s_cbranch_execz .LBB25_5
; %bb.35:                               ;   in Loop: Header=BB25_6 Depth=1
	;;#ASMSTART
	s_nop 0
	v_add_f32 v44, v45, v44 row_shl:1 bound_ctrl:0 
	;;#ASMEND
	;;#ASMSTART
	s_nop 0
	v_add_f32 v40, v41, v40 row_shl:1 bound_ctrl:0 
	;;#ASMEND
	;;#ASMSTART
	s_nop 0
	v_add_f32 v36, v37, v36 row_shl:1 bound_ctrl:0 
	;;#ASMEND
	;;#ASMSTART
	s_nop 0
	v_add_f32 v32, v33, v32 row_shl:1 bound_ctrl:0 
	;;#ASMEND
	s_nop 0
	;;#ASMSTART
	s_nop 0
	v_add_f32 v44, v46, v44 row_shl:2 bound_ctrl:0 
	;;#ASMEND
	;;#ASMSTART
	s_nop 0
	v_add_f32 v40, v42, v40 row_shl:2 bound_ctrl:0 
	;;#ASMEND
	;;#ASMSTART
	s_nop 0
	v_add_f32 v36, v38, v36 row_shl:2 bound_ctrl:0 
	;;#ASMEND
	;;#ASMSTART
	s_nop 0
	v_add_f32 v32, v34, v32 row_shl:2 bound_ctrl:0 
	;;#ASMEND
	s_nop 0
	;; [unrolled: 17-line block ×5, first 2 shown]
	;;#ASMSTART
	s_nop 0
	v_mov_b32 v44, v44 row_shr:15 bound_ctrl:0 
	;;#ASMEND
	;;#ASMSTART
	s_nop 0
	v_mov_b32 v40, v40 row_shr:15 bound_ctrl:0 
	;;#ASMEND
	;; [unrolled: 4-line block ×4, first 2 shown]
	s_nop 0
	;;#ASMSTART
	s_nop 0
	v_add_f32 v44, v44, v44 row_bcast:15 bound_ctrl:0
	;;#ASMEND
	;;#ASMSTART
	s_nop 0
	v_add_f32 v40, v40, v40 row_bcast:15 bound_ctrl:0
	;;#ASMEND
	;;#ASMSTART
	s_nop 0
	v_add_f32 v36, v36, v36 row_bcast:15 bound_ctrl:0
	;;#ASMEND
	;;#ASMSTART
	s_nop 0
	v_add_f32 v32, v32, v32 row_bcast:15 bound_ctrl:0
	;;#ASMEND
	s_nop 0
	;;#ASMSTART
	s_nop 0
	v_add_f32 v44, v44, v44 row_bcast:31 bound_ctrl:0
	;;#ASMEND
	;;#ASMSTART
	s_nop 0
	v_add_f32 v40, v40, v40 row_bcast:31 bound_ctrl:0
	;;#ASMEND
	;;#ASMSTART
	s_nop 0
	v_add_f32 v36, v36, v36 row_bcast:31 bound_ctrl:0
	;;#ASMEND
	;;#ASMSTART
	s_nop 0
	v_add_f32 v32, v32, v32 row_bcast:31 bound_ctrl:0
	;;#ASMEND
	s_and_saveexec_b64 s[6:7], s[0:1]
	s_cbranch_execz .LBB25_4
; %bb.36:                               ;   in Loop: Header=BB25_6 Depth=1
	v_and_b32_e32 v33, 0x7f800000, v44
	v_cmp_ne_u32_e32 vcc, s35, v33
                                        ; implicit-def: $vgpr33
	s_and_saveexec_b64 s[22:23], vcc
	s_xor_b64 s[22:23], exec, s[22:23]
; %bb.37:                               ;   in Loop: Header=BB25_6 Depth=1
	v_bfe_u32 v33, v44, 16, 1
	v_add3_u32 v33, v44, v33, s36
                                        ; implicit-def: $vgpr44
; %bb.38:                               ;   in Loop: Header=BB25_6 Depth=1
	s_andn2_saveexec_b64 s[22:23], s[22:23]
; %bb.39:                               ;   in Loop: Header=BB25_6 Depth=1
	v_or_b32_e32 v33, 0x10000, v44
	v_cmp_eq_u32_sdwa vcc, v44, v51 src0_sel:WORD_0 src1_sel:DWORD
	s_nop 1
	v_cndmask_b32_e32 v33, v33, v44, vcc
; %bb.40:                               ;   in Loop: Header=BB25_6 Depth=1
	s_or_b64 exec, exec, s[22:23]
	v_mov_b32_e32 v49, v51
	s_waitcnt lgkmcnt(0)
	v_lshl_add_u64 v[34:35], v[48:49], 1, s[16:17]
	global_store_short_d16_hi v[34:35], v33, off
	v_and_b32_e32 v33, 0x7f800000, v40
	v_cmp_ne_u32_e32 vcc, s35, v33
                                        ; implicit-def: $vgpr33
	s_and_saveexec_b64 s[22:23], vcc
	s_xor_b64 s[22:23], exec, s[22:23]
; %bb.41:                               ;   in Loop: Header=BB25_6 Depth=1
	v_bfe_u32 v33, v40, 16, 1
	v_add3_u32 v33, v40, v33, s36
                                        ; implicit-def: $vgpr40
; %bb.42:                               ;   in Loop: Header=BB25_6 Depth=1
	s_andn2_saveexec_b64 s[22:23], s[22:23]
; %bb.43:                               ;   in Loop: Header=BB25_6 Depth=1
	v_or_b32_e32 v33, 0x10000, v40
	v_cmp_eq_u32_sdwa vcc, v40, v51 src0_sel:WORD_0 src1_sel:DWORD
	s_nop 1
	v_cndmask_b32_e32 v33, v33, v40, vcc
; %bb.44:                               ;   in Loop: Header=BB25_6 Depth=1
	s_or_b64 exec, exec, s[22:23]
	global_store_short_d16_hi v[34:35], v33, off offset:2
	v_and_b32_e32 v33, 0x7f800000, v36
	v_cmp_ne_u32_e32 vcc, s35, v33
                                        ; implicit-def: $vgpr33
	s_and_saveexec_b64 s[22:23], vcc
	s_xor_b64 s[22:23], exec, s[22:23]
; %bb.45:                               ;   in Loop: Header=BB25_6 Depth=1
	v_bfe_u32 v33, v36, 16, 1
	v_add3_u32 v33, v36, v33, s36
                                        ; implicit-def: $vgpr36
; %bb.46:                               ;   in Loop: Header=BB25_6 Depth=1
	s_andn2_saveexec_b64 s[22:23], s[22:23]
; %bb.47:                               ;   in Loop: Header=BB25_6 Depth=1
	v_or_b32_e32 v33, 0x10000, v36
	v_cmp_eq_u32_sdwa vcc, v36, v51 src0_sel:WORD_0 src1_sel:DWORD
	s_nop 1
	v_cndmask_b32_e32 v33, v33, v36, vcc
; %bb.48:                               ;   in Loop: Header=BB25_6 Depth=1
	s_or_b64 exec, exec, s[22:23]
	v_add_u32_e32 v50, s11, v48
	v_lshl_add_u64 v[34:35], v[50:51], 1, s[16:17]
	global_store_short_d16_hi v[34:35], v33, off
	v_and_b32_e32 v33, 0x7f800000, v32
	v_cmp_ne_u32_e32 vcc, s35, v33
                                        ; implicit-def: $vgpr33
	s_and_saveexec_b64 s[22:23], vcc
	s_xor_b64 s[22:23], exec, s[22:23]
; %bb.49:                               ;   in Loop: Header=BB25_6 Depth=1
	v_bfe_u32 v33, v32, 16, 1
	v_add3_u32 v33, v32, v33, s36
                                        ; implicit-def: $vgpr32
; %bb.50:                               ;   in Loop: Header=BB25_6 Depth=1
	s_andn2_saveexec_b64 s[22:23], s[22:23]
	s_cbranch_execz .LBB25_3
; %bb.51:                               ;   in Loop: Header=BB25_6 Depth=1
	v_or_b32_e32 v33, 0x10000, v32
	v_cmp_eq_u32_sdwa vcc, v32, v51 src0_sel:WORD_0 src1_sel:DWORD
	s_nop 1
	v_cndmask_b32_e32 v33, v33, v32, vcc
	s_branch .LBB25_3
.LBB25_52:
	s_endpgm
	.section	.rodata,"a",@progbits
	.p2align	6, 0x0
	.amdhsa_kernel _Z16wvSplitK_hf_big_I14__hip_bfloat16Li64ELi2ELi16ELi8ELi2ELi2EEviiPKT_S3_PS1_ii
		.amdhsa_group_segment_fixed_size 65536
		.amdhsa_private_segment_fixed_size 0
		.amdhsa_kernarg_size 40
		.amdhsa_user_sgpr_count 2
		.amdhsa_user_sgpr_dispatch_ptr 0
		.amdhsa_user_sgpr_queue_ptr 0
		.amdhsa_user_sgpr_kernarg_segment_ptr 1
		.amdhsa_user_sgpr_dispatch_id 0
		.amdhsa_user_sgpr_kernarg_preload_length 0
		.amdhsa_user_sgpr_kernarg_preload_offset 0
		.amdhsa_user_sgpr_private_segment_size 0
		.amdhsa_uses_dynamic_stack 0
		.amdhsa_enable_private_segment 0
		.amdhsa_system_sgpr_workgroup_id_x 1
		.amdhsa_system_sgpr_workgroup_id_y 0
		.amdhsa_system_sgpr_workgroup_id_z 0
		.amdhsa_system_sgpr_workgroup_info 0
		.amdhsa_system_vgpr_workitem_id 1
		.amdhsa_next_free_vgpr 68
		.amdhsa_next_free_sgpr 42
		.amdhsa_accum_offset 68
		.amdhsa_reserve_vcc 1
		.amdhsa_float_round_mode_32 0
		.amdhsa_float_round_mode_16_64 0
		.amdhsa_float_denorm_mode_32 3
		.amdhsa_float_denorm_mode_16_64 3
		.amdhsa_dx10_clamp 1
		.amdhsa_ieee_mode 1
		.amdhsa_fp16_overflow 0
		.amdhsa_tg_split 0
		.amdhsa_exception_fp_ieee_invalid_op 0
		.amdhsa_exception_fp_denorm_src 0
		.amdhsa_exception_fp_ieee_div_zero 0
		.amdhsa_exception_fp_ieee_overflow 0
		.amdhsa_exception_fp_ieee_underflow 0
		.amdhsa_exception_fp_ieee_inexact 0
		.amdhsa_exception_int_div_zero 0
	.end_amdhsa_kernel
	.section	.text._Z16wvSplitK_hf_big_I14__hip_bfloat16Li64ELi2ELi16ELi8ELi2ELi2EEviiPKT_S3_PS1_ii,"axG",@progbits,_Z16wvSplitK_hf_big_I14__hip_bfloat16Li64ELi2ELi16ELi8ELi2ELi2EEviiPKT_S3_PS1_ii,comdat
.Lfunc_end25:
	.size	_Z16wvSplitK_hf_big_I14__hip_bfloat16Li64ELi2ELi16ELi8ELi2ELi2EEviiPKT_S3_PS1_ii, .Lfunc_end25-_Z16wvSplitK_hf_big_I14__hip_bfloat16Li64ELi2ELi16ELi8ELi2ELi2EEviiPKT_S3_PS1_ii
                                        ; -- End function
	.section	.AMDGPU.csdata,"",@progbits
; Kernel info:
; codeLenInByte = 2240
; NumSgprs: 48
; NumVgprs: 68
; NumAgprs: 0
; TotalNumVgprs: 68
; ScratchSize: 0
; MemoryBound: 0
; FloatMode: 240
; IeeeMode: 1
; LDSByteSize: 65536 bytes/workgroup (compile time only)
; SGPRBlocks: 5
; VGPRBlocks: 8
; NumSGPRsForWavesPerEU: 48
; NumVGPRsForWavesPerEU: 68
; AccumOffset: 68
; Occupancy: 4
; WaveLimiterHint : 0
; COMPUTE_PGM_RSRC2:SCRATCH_EN: 0
; COMPUTE_PGM_RSRC2:USER_SGPR: 2
; COMPUTE_PGM_RSRC2:TRAP_HANDLER: 0
; COMPUTE_PGM_RSRC2:TGID_X_EN: 1
; COMPUTE_PGM_RSRC2:TGID_Y_EN: 0
; COMPUTE_PGM_RSRC2:TGID_Z_EN: 0
; COMPUTE_PGM_RSRC2:TIDIG_COMP_CNT: 1
; COMPUTE_PGM_RSRC3_GFX90A:ACCUM_OFFSET: 16
; COMPUTE_PGM_RSRC3_GFX90A:TG_SPLIT: 0
	.section	.text._Z16wvSplitK_hf_sml_I14__hip_bfloat16Li64ELi4ELi16ELi8ELi1ELi3EEviiPKT_S3_PS1_ii,"axG",@progbits,_Z16wvSplitK_hf_sml_I14__hip_bfloat16Li64ELi4ELi16ELi8ELi1ELi3EEviiPKT_S3_PS1_ii,comdat
	.protected	_Z16wvSplitK_hf_sml_I14__hip_bfloat16Li64ELi4ELi16ELi8ELi1ELi3EEviiPKT_S3_PS1_ii ; -- Begin function _Z16wvSplitK_hf_sml_I14__hip_bfloat16Li64ELi4ELi16ELi8ELi1ELi3EEviiPKT_S3_PS1_ii
	.globl	_Z16wvSplitK_hf_sml_I14__hip_bfloat16Li64ELi4ELi16ELi8ELi1ELi3EEviiPKT_S3_PS1_ii
	.p2align	8
	.type	_Z16wvSplitK_hf_sml_I14__hip_bfloat16Li64ELi4ELi16ELi8ELi1ELi3EEviiPKT_S3_PS1_ii,@function
_Z16wvSplitK_hf_sml_I14__hip_bfloat16Li64ELi4ELi16ELi8ELi1ELi3EEviiPKT_S3_PS1_ii: ; @_Z16wvSplitK_hf_sml_I14__hip_bfloat16Li64ELi4ELi16ELi8ELi1ELi3EEviiPKT_S3_PS1_ii
; %bb.0:
	s_load_dwordx2 s[4:5], s[0:1], 0x0
	v_and_b32_e32 v2, 0x3ff, v0
	v_bfe_u32 v3, v0, 10, 10
	v_lshlrev_b32_e32 v52, 3, v2
	s_mov_b32 s3, 0
	s_waitcnt lgkmcnt(0)
	s_cmp_lg_u32 s4, 0
	s_cselect_b64 s[16:17], -1, 0
	s_cmp_eq_u32 s4, 0
	s_cbranch_scc1 .LBB26_6
; %bb.1:
	s_load_dwordx2 s[6:7], s[0:1], 0x10
	s_mul_i32 s8, s4, 3
	v_lshlrev_b32_e32 v0, 4, v2
	s_min_i32 s14, s8, 0x8000
	v_lshl_add_u32 v4, v3, 10, v0
	v_lshl_add_u32 v5, v3, 9, v52
	s_mov_b64 s[8:9], 0
	v_mov_b32_e32 v1, 0
                                        ; implicit-def: $sgpr10_sgpr11
	s_branch .LBB26_3
.LBB26_2:                               ;   in Loop: Header=BB26_3 Depth=1
	s_or_b64 exec, exec, s[12:13]
	s_and_b64 s[12:13], exec, s[10:11]
	s_or_b64 s[8:9], s[12:13], s[8:9]
	s_andn2_b64 exec, exec, s[8:9]
	s_cbranch_execz .LBB26_5
.LBB26_3:                               ; =>This Inner Loop Header: Depth=1
	v_add_u32_e32 v0, s3, v5
	v_cmp_gt_u32_e32 vcc, s14, v0
	s_or_b64 s[10:11], s[10:11], exec
	s_and_saveexec_b64 s[12:13], vcc
	s_cbranch_execz .LBB26_2
; %bb.4:                                ;   in Loop: Header=BB26_3 Depth=1
	s_waitcnt lgkmcnt(0)
	v_lshl_add_u64 v[6:7], v[0:1], 1, s[6:7]
	global_load_dwordx4 v[6:9], v[6:7], off
	s_addk_i32 s3, 0x2000
	s_cmp_ge_u32 s3, s14
	s_cselect_b64 s[18:19], -1, 0
	s_andn2_b64 s[10:11], s[10:11], exec
	s_and_b64 s[18:19], s[18:19], exec
	s_or_b64 s[10:11], s[10:11], s[18:19]
	s_waitcnt vmcnt(0)
	ds_write_b128 v4, v[6:9]
	v_add_u32_e32 v4, 0x4000, v4
	s_branch .LBB26_2
.LBB26_5:
	s_or_b64 exec, exec, s[8:9]
.LBB26_6:
	s_load_dwordx2 s[10:11], s[0:1], 0x20
	s_waitcnt lgkmcnt(0)
	s_barrier
	v_cmp_gt_u32_e32 vcc, s10, v3
	s_and_saveexec_b64 s[6:7], vcc
	s_cbranch_execz .LBB26_65
; %bb.7:
	s_mul_i32 s2, s2, s10
	v_add_u32_e32 v0, s2, v3
	v_lshlrev_b32_e32 v48, 2, v0
	v_cmp_gt_u32_e32 vcc, s5, v48
	s_and_b64 exec, exec, vcc
	s_cbranch_execz .LBB26_65
; %bb.8:
	s_load_dwordx2 s[6:7], s[0:1], 0x8
	s_load_dwordx2 s[8:9], s[0:1], 0x18
	s_mul_i32 s2, s10, s11
	v_mul_lo_u32 v0, s4, v0
	s_lshl_b32 s20, s2, 2
	s_ashr_i32 s11, s4, 31
	s_mov_b32 s10, s4
	v_lshl_add_u32 v54, v0, 2, v52
	s_mul_i32 s2, s2, s4
	v_cndmask_b32_e64 v0, 0, 1, s[16:17]
	v_cmp_eq_u32_e64 s[0:1], 63, v2
	s_lshl_b64 s[12:13], s[10:11], 1
	s_lshl_b32 s21, s4, 2
	v_lshlrev_b32_e32 v53, 4, v2
	s_lshl_b32 s22, s4, 1
	s_lshl_b32 s23, s2, 2
	s_mov_b64 s[14:15], 0
	v_cmp_ne_u32_e64 s[2:3], 1, v0
	v_mov_b32_e32 v51, 0
	s_mov_b32 s24, 0x7f800000
	s_movk_i32 s25, 0x7fff
	s_branch .LBB26_11
.LBB26_9:                               ;   in Loop: Header=BB26_11 Depth=1
	s_or_b64 exec, exec, s[18:19]
	v_add_u32_e32 v50, 3, v50
	v_lshl_add_u64 v[2:3], v[50:51], 1, s[8:9]
	global_store_short_d16_hi v[2:3], v1, off
.LBB26_10:                              ;   in Loop: Header=BB26_11 Depth=1
	s_or_b64 exec, exec, s[16:17]
	v_add_u32_e32 v48, s20, v48
	v_cmp_le_u32_e32 vcc, s5, v48
	s_or_b64 s[14:15], vcc, s[14:15]
	v_add_u32_e32 v54, s23, v54
	s_andn2_b64 exec, exec, s[14:15]
	s_cbranch_execz .LBB26_65
.LBB26_11:                              ; =>This Loop Header: Depth=1
                                        ;     Child Loop BB26_14 Depth 2
	s_and_b64 vcc, exec, s[2:3]
	v_mov_b32_e32 v3, v51
	v_mov_b32_e32 v2, v51
	;; [unrolled: 1-line block ×48, first 2 shown]
	s_cbranch_vccnz .LBB26_16
; %bb.12:                               ;   in Loop: Header=BB26_11 Depth=1
	v_mov_b32_e32 v40, 0
	s_mov_b32 s18, 0
	v_mov_b32_e32 v49, v53
	v_mov_b32_e32 v41, v40
	;; [unrolled: 1-line block ×48, first 2 shown]
	s_branch .LBB26_14
.LBB26_13:                              ;   in Loop: Header=BB26_14 Depth=2
	s_or_b64 exec, exec, s[16:17]
	s_addk_i32 s18, 0x200
	s_cmp_ge_u32 s18, s4
	v_add_u32_e32 v49, 0x400, v49
	s_cbranch_scc1 .LBB26_16
.LBB26_14:                              ;   Parent Loop BB26_11 Depth=1
                                        ; =>  This Inner Loop Header: Depth=2
	v_add_u32_e32 v50, s18, v52
	v_cmp_gt_u32_e32 vcc, s4, v50
	s_and_saveexec_b64 s[16:17], vcc
	s_cbranch_execz .LBB26_13
; %bb.15:                               ;   in Loop: Header=BB26_14 Depth=2
	v_add_u32_e32 v50, s18, v54
	s_waitcnt lgkmcnt(0)
	v_lshl_add_u64 v[60:61], v[50:51], 1, s[6:7]
	global_load_dwordx4 v[56:59], v[60:61], off nt
	v_lshl_add_u64 v[72:73], s[10:11], 1, v[60:61]
	v_add_u32_e32 v55, s21, v49
	global_load_dwordx4 v[60:63], v[72:73], off nt
	ds_read_b128 v[64:67], v49
	v_add_u32_e32 v50, s22, v49
	ds_read2_b32 v[80:81], v55 offset0:2 offset1:3
	ds_read_b128 v[68:71], v50
	ds_read2_b32 v[82:83], v55 offset1:1
	s_waitcnt vmcnt(1) lgkmcnt(3)
	v_mfma_f32_4x4x4_16b_bf16 v[44:47], v[64:65], v[56:57], v[44:47]
	s_waitcnt lgkmcnt(1)
	v_mfma_f32_4x4x4_16b_bf16 v[28:31], v[68:69], v[56:57], v[28:31]
	s_waitcnt lgkmcnt(0)
	v_mfma_f32_4x4x4_16b_bf16 v[12:15], v[82:83], v[56:57], v[12:15]
	v_lshl_add_u64 v[56:57], v[72:73], 0, s[12:13]
	global_load_dwordx4 v[72:75], v[56:57], off nt
	v_lshl_add_u64 v[56:57], v[56:57], 0, s[12:13]
	global_load_dwordx4 v[76:79], v[56:57], off nt
	s_waitcnt vmcnt(2)
	v_mfma_f32_4x4x4_16b_bf16 v[40:43], v[64:65], v[60:61], v[40:43]
	v_mfma_f32_4x4x4_16b_bf16 v[24:27], v[68:69], v[60:61], v[24:27]
	;; [unrolled: 1-line block ×9, first 2 shown]
	s_waitcnt vmcnt(1)
	v_mfma_f32_4x4x4_16b_bf16 v[36:39], v[64:65], v[72:73], v[36:39]
	v_mfma_f32_4x4x4_16b_bf16 v[20:23], v[68:69], v[72:73], v[20:23]
	;; [unrolled: 1-line block ×3, first 2 shown]
	s_waitcnt vmcnt(0)
	v_mfma_f32_4x4x4_16b_bf16 v[32:35], v[64:65], v[76:77], v[32:35]
	v_mfma_f32_4x4x4_16b_bf16 v[16:19], v[68:69], v[76:77], v[16:19]
	;; [unrolled: 1-line block ×9, first 2 shown]
	s_branch .LBB26_13
.LBB26_16:                              ;   in Loop: Header=BB26_11 Depth=1
	;;#ASMSTART
	s_nop 0
	v_add_f32 v44, v45, v44 row_shl:1 bound_ctrl:0 
	;;#ASMEND
	;;#ASMSTART
	s_nop 0
	v_add_f32 v40, v41, v40 row_shl:1 bound_ctrl:0 
	;;#ASMEND
	;;#ASMSTART
	s_nop 0
	v_add_f32 v36, v37, v36 row_shl:1 bound_ctrl:0 
	;;#ASMEND
	;;#ASMSTART
	s_nop 0
	v_add_f32 v32, v33, v32 row_shl:1 bound_ctrl:0 
	;;#ASMEND
	;;#ASMSTART
	s_nop 0
	v_add_f32 v28, v29, v28 row_shl:1 bound_ctrl:0 
	;;#ASMEND
	;;#ASMSTART
	s_nop 0
	v_add_f32 v24, v25, v24 row_shl:1 bound_ctrl:0 
	;;#ASMEND
	;;#ASMSTART
	s_nop 0
	v_add_f32 v20, v21, v20 row_shl:1 bound_ctrl:0 
	;;#ASMEND
	;;#ASMSTART
	s_nop 0
	v_add_f32 v16, v17, v16 row_shl:1 bound_ctrl:0 
	;;#ASMEND
	;;#ASMSTART
	s_nop 0
	v_add_f32 v12, v13, v12 row_shl:1 bound_ctrl:0 
	;;#ASMEND
	;;#ASMSTART
	s_nop 0
	v_add_f32 v8, v9, v8 row_shl:1 bound_ctrl:0 
	;;#ASMEND
	;;#ASMSTART
	s_nop 0
	v_add_f32 v4, v5, v4 row_shl:1 bound_ctrl:0 
	;;#ASMEND
	;;#ASMSTART
	s_nop 0
	v_add_f32 v0, v1, v0 row_shl:1 bound_ctrl:0 
	;;#ASMEND
	s_nop 0
	;;#ASMSTART
	s_nop 0
	v_add_f32 v44, v46, v44 row_shl:2 bound_ctrl:0 
	;;#ASMEND
	;;#ASMSTART
	s_nop 0
	v_add_f32 v40, v42, v40 row_shl:2 bound_ctrl:0 
	;;#ASMEND
	;;#ASMSTART
	s_nop 0
	v_add_f32 v36, v38, v36 row_shl:2 bound_ctrl:0 
	;;#ASMEND
	;;#ASMSTART
	s_nop 0
	v_add_f32 v32, v34, v32 row_shl:2 bound_ctrl:0 
	;;#ASMEND
	;;#ASMSTART
	s_nop 0
	v_add_f32 v28, v30, v28 row_shl:2 bound_ctrl:0 
	;;#ASMEND
	;;#ASMSTART
	s_nop 0
	v_add_f32 v24, v26, v24 row_shl:2 bound_ctrl:0 
	;;#ASMEND
	;;#ASMSTART
	s_nop 0
	v_add_f32 v20, v22, v20 row_shl:2 bound_ctrl:0 
	;;#ASMEND
	;;#ASMSTART
	s_nop 0
	v_add_f32 v16, v18, v16 row_shl:2 bound_ctrl:0 
	;;#ASMEND
	;;#ASMSTART
	s_nop 0
	v_add_f32 v12, v14, v12 row_shl:2 bound_ctrl:0 
	;;#ASMEND
	;;#ASMSTART
	s_nop 0
	v_add_f32 v8, v10, v8 row_shl:2 bound_ctrl:0 
	;;#ASMEND
	;;#ASMSTART
	s_nop 0
	v_add_f32 v4, v6, v4 row_shl:2 bound_ctrl:0 
	;;#ASMEND
	;;#ASMSTART
	s_nop 0
	v_add_f32 v0, v2, v0 row_shl:2 bound_ctrl:0 
	;;#ASMEND
	s_nop 0
	;; [unrolled: 49-line block ×5, first 2 shown]
	;;#ASMSTART
	s_nop 0
	v_mov_b32 v44, v44 row_shr:15 bound_ctrl:0 
	;;#ASMEND
	;;#ASMSTART
	s_nop 0
	v_mov_b32 v40, v40 row_shr:15 bound_ctrl:0 
	;;#ASMEND
	;; [unrolled: 4-line block ×12, first 2 shown]
	s_nop 0
	;;#ASMSTART
	s_nop 0
	v_add_f32 v44, v44, v44 row_bcast:15 bound_ctrl:0
	;;#ASMEND
	;;#ASMSTART
	s_nop 0
	v_add_f32 v40, v40, v40 row_bcast:15 bound_ctrl:0
	;;#ASMEND
	;; [unrolled: 4-line block ×12, first 2 shown]
	s_nop 0
	;;#ASMSTART
	s_nop 0
	v_add_f32 v44, v44, v44 row_bcast:31 bound_ctrl:0
	;;#ASMEND
	;;#ASMSTART
	s_nop 0
	v_add_f32 v40, v40, v40 row_bcast:31 bound_ctrl:0
	;;#ASMEND
	;; [unrolled: 4-line block ×12, first 2 shown]
	s_and_saveexec_b64 s[16:17], s[0:1]
	s_cbranch_execz .LBB26_10
; %bb.17:                               ;   in Loop: Header=BB26_11 Depth=1
	v_and_b32_e32 v1, 0x7f800000, v44
	v_cmp_ne_u32_e32 vcc, s24, v1
                                        ; implicit-def: $vgpr1
	s_and_saveexec_b64 s[18:19], vcc
	s_xor_b64 s[18:19], exec, s[18:19]
; %bb.18:                               ;   in Loop: Header=BB26_11 Depth=1
	v_bfe_u32 v1, v44, 16, 1
	v_add3_u32 v1, v44, v1, s25
                                        ; implicit-def: $vgpr44
; %bb.19:                               ;   in Loop: Header=BB26_11 Depth=1
	s_andn2_saveexec_b64 s[18:19], s[18:19]
; %bb.20:                               ;   in Loop: Header=BB26_11 Depth=1
	v_or_b32_e32 v1, 0x10000, v44
	v_cmp_eq_u32_sdwa vcc, v44, v51 src0_sel:WORD_0 src1_sel:DWORD
	s_nop 1
	v_cndmask_b32_e32 v1, v1, v44, vcc
; %bb.21:                               ;   in Loop: Header=BB26_11 Depth=1
	s_or_b64 exec, exec, s[18:19]
	v_mov_b32_e32 v49, v51
	s_waitcnt lgkmcnt(0)
	v_lshl_add_u64 v[2:3], v[48:49], 1, s[8:9]
	global_store_short_d16_hi v[2:3], v1, off
	v_and_b32_e32 v1, 0x7f800000, v40
	v_cmp_ne_u32_e32 vcc, s24, v1
                                        ; implicit-def: $vgpr1
	s_and_saveexec_b64 s[18:19], vcc
	s_xor_b64 s[18:19], exec, s[18:19]
; %bb.22:                               ;   in Loop: Header=BB26_11 Depth=1
	v_bfe_u32 v1, v40, 16, 1
	v_add3_u32 v1, v40, v1, s25
                                        ; implicit-def: $vgpr40
; %bb.23:                               ;   in Loop: Header=BB26_11 Depth=1
	s_andn2_saveexec_b64 s[18:19], s[18:19]
; %bb.24:                               ;   in Loop: Header=BB26_11 Depth=1
	v_or_b32_e32 v1, 0x10000, v40
	v_cmp_eq_u32_sdwa vcc, v40, v51 src0_sel:WORD_0 src1_sel:DWORD
	s_nop 1
	v_cndmask_b32_e32 v1, v1, v40, vcc
; %bb.25:                               ;   in Loop: Header=BB26_11 Depth=1
	s_or_b64 exec, exec, s[18:19]
	global_store_short_d16_hi v[2:3], v1, off offset:2
	v_and_b32_e32 v1, 0x7f800000, v36
	v_cmp_ne_u32_e32 vcc, s24, v1
                                        ; implicit-def: $vgpr1
	s_and_saveexec_b64 s[18:19], vcc
	s_xor_b64 s[18:19], exec, s[18:19]
; %bb.26:                               ;   in Loop: Header=BB26_11 Depth=1
	v_bfe_u32 v1, v36, 16, 1
	v_add3_u32 v1, v36, v1, s25
                                        ; implicit-def: $vgpr36
; %bb.27:                               ;   in Loop: Header=BB26_11 Depth=1
	s_andn2_saveexec_b64 s[18:19], s[18:19]
; %bb.28:                               ;   in Loop: Header=BB26_11 Depth=1
	v_or_b32_e32 v1, 0x10000, v36
	v_cmp_eq_u32_sdwa vcc, v36, v51 src0_sel:WORD_0 src1_sel:DWORD
	s_nop 1
	v_cndmask_b32_e32 v1, v1, v36, vcc
; %bb.29:                               ;   in Loop: Header=BB26_11 Depth=1
	s_or_b64 exec, exec, s[18:19]
	global_store_short_d16_hi v[2:3], v1, off offset:4
	v_and_b32_e32 v1, 0x7f800000, v32
	v_cmp_ne_u32_e32 vcc, s24, v1
                                        ; implicit-def: $vgpr1
	s_and_saveexec_b64 s[18:19], vcc
	s_xor_b64 s[18:19], exec, s[18:19]
; %bb.30:                               ;   in Loop: Header=BB26_11 Depth=1
	v_bfe_u32 v1, v32, 16, 1
	v_add3_u32 v1, v32, v1, s25
                                        ; implicit-def: $vgpr32
; %bb.31:                               ;   in Loop: Header=BB26_11 Depth=1
	s_andn2_saveexec_b64 s[18:19], s[18:19]
; %bb.32:                               ;   in Loop: Header=BB26_11 Depth=1
	v_or_b32_e32 v1, 0x10000, v32
	v_cmp_eq_u32_sdwa vcc, v32, v51 src0_sel:WORD_0 src1_sel:DWORD
	s_nop 1
	v_cndmask_b32_e32 v1, v1, v32, vcc
; %bb.33:                               ;   in Loop: Header=BB26_11 Depth=1
	s_or_b64 exec, exec, s[18:19]
	global_store_short_d16_hi v[2:3], v1, off offset:6
	v_and_b32_e32 v1, 0x7f800000, v28
	v_cmp_ne_u32_e32 vcc, s24, v1
                                        ; implicit-def: $vgpr1
	s_and_saveexec_b64 s[18:19], vcc
	s_xor_b64 s[18:19], exec, s[18:19]
; %bb.34:                               ;   in Loop: Header=BB26_11 Depth=1
	v_bfe_u32 v1, v28, 16, 1
	v_add3_u32 v1, v28, v1, s25
                                        ; implicit-def: $vgpr28
; %bb.35:                               ;   in Loop: Header=BB26_11 Depth=1
	s_andn2_saveexec_b64 s[18:19], s[18:19]
; %bb.36:                               ;   in Loop: Header=BB26_11 Depth=1
	v_or_b32_e32 v1, 0x10000, v28
	v_cmp_eq_u32_sdwa vcc, v28, v51 src0_sel:WORD_0 src1_sel:DWORD
	s_nop 1
	v_cndmask_b32_e32 v1, v1, v28, vcc
; %bb.37:                               ;   in Loop: Header=BB26_11 Depth=1
	s_or_b64 exec, exec, s[18:19]
	v_add_u32_e32 v50, s5, v48
	v_lshl_add_u64 v[2:3], v[50:51], 1, s[8:9]
	global_store_short_d16_hi v[2:3], v1, off
	v_and_b32_e32 v1, 0x7f800000, v24
	v_cmp_ne_u32_e32 vcc, s24, v1
                                        ; implicit-def: $vgpr1
	s_and_saveexec_b64 s[18:19], vcc
	s_xor_b64 s[18:19], exec, s[18:19]
; %bb.38:                               ;   in Loop: Header=BB26_11 Depth=1
	v_bfe_u32 v1, v24, 16, 1
	v_add3_u32 v1, v24, v1, s25
                                        ; implicit-def: $vgpr24
; %bb.39:                               ;   in Loop: Header=BB26_11 Depth=1
	s_andn2_saveexec_b64 s[18:19], s[18:19]
; %bb.40:                               ;   in Loop: Header=BB26_11 Depth=1
	v_or_b32_e32 v1, 0x10000, v24
	v_cmp_eq_u32_sdwa vcc, v24, v51 src0_sel:WORD_0 src1_sel:DWORD
	s_nop 1
	v_cndmask_b32_e32 v1, v1, v24, vcc
; %bb.41:                               ;   in Loop: Header=BB26_11 Depth=1
	s_or_b64 exec, exec, s[18:19]
	v_add_u32_e32 v2, 1, v50
	v_mov_b32_e32 v3, v51
	v_lshl_add_u64 v[2:3], v[2:3], 1, s[8:9]
	global_store_short_d16_hi v[2:3], v1, off
	v_and_b32_e32 v1, 0x7f800000, v20
	v_cmp_ne_u32_e32 vcc, s24, v1
                                        ; implicit-def: $vgpr1
	s_and_saveexec_b64 s[18:19], vcc
	s_xor_b64 s[18:19], exec, s[18:19]
; %bb.42:                               ;   in Loop: Header=BB26_11 Depth=1
	v_bfe_u32 v1, v20, 16, 1
	v_add3_u32 v1, v20, v1, s25
                                        ; implicit-def: $vgpr20
; %bb.43:                               ;   in Loop: Header=BB26_11 Depth=1
	s_andn2_saveexec_b64 s[18:19], s[18:19]
; %bb.44:                               ;   in Loop: Header=BB26_11 Depth=1
	v_or_b32_e32 v1, 0x10000, v20
	v_cmp_eq_u32_sdwa vcc, v20, v51 src0_sel:WORD_0 src1_sel:DWORD
	s_nop 1
	v_cndmask_b32_e32 v1, v1, v20, vcc
; %bb.45:                               ;   in Loop: Header=BB26_11 Depth=1
	s_or_b64 exec, exec, s[18:19]
	v_add_u32_e32 v2, 2, v50
	v_mov_b32_e32 v3, v51
	v_lshl_add_u64 v[2:3], v[2:3], 1, s[8:9]
	global_store_short_d16_hi v[2:3], v1, off
	v_and_b32_e32 v1, 0x7f800000, v16
	v_cmp_ne_u32_e32 vcc, s24, v1
                                        ; implicit-def: $vgpr1
	s_and_saveexec_b64 s[18:19], vcc
	s_xor_b64 s[18:19], exec, s[18:19]
; %bb.46:                               ;   in Loop: Header=BB26_11 Depth=1
	v_bfe_u32 v1, v16, 16, 1
	v_add3_u32 v1, v16, v1, s25
                                        ; implicit-def: $vgpr16
; %bb.47:                               ;   in Loop: Header=BB26_11 Depth=1
	s_andn2_saveexec_b64 s[18:19], s[18:19]
; %bb.48:                               ;   in Loop: Header=BB26_11 Depth=1
	v_or_b32_e32 v1, 0x10000, v16
	v_cmp_eq_u32_sdwa vcc, v16, v51 src0_sel:WORD_0 src1_sel:DWORD
	s_nop 1
	v_cndmask_b32_e32 v1, v1, v16, vcc
; %bb.49:                               ;   in Loop: Header=BB26_11 Depth=1
	s_or_b64 exec, exec, s[18:19]
	v_add_u32_e32 v2, 3, v50
	v_mov_b32_e32 v3, v51
	v_lshl_add_u64 v[2:3], v[2:3], 1, s[8:9]
	global_store_short_d16_hi v[2:3], v1, off
	v_and_b32_e32 v1, 0x7f800000, v12
	v_cmp_ne_u32_e32 vcc, s24, v1
                                        ; implicit-def: $vgpr1
	s_and_saveexec_b64 s[18:19], vcc
	s_xor_b64 s[18:19], exec, s[18:19]
; %bb.50:                               ;   in Loop: Header=BB26_11 Depth=1
	v_bfe_u32 v1, v12, 16, 1
	v_add3_u32 v1, v12, v1, s25
                                        ; implicit-def: $vgpr12
; %bb.51:                               ;   in Loop: Header=BB26_11 Depth=1
	s_andn2_saveexec_b64 s[18:19], s[18:19]
; %bb.52:                               ;   in Loop: Header=BB26_11 Depth=1
	v_or_b32_e32 v1, 0x10000, v12
	v_cmp_eq_u32_sdwa vcc, v12, v51 src0_sel:WORD_0 src1_sel:DWORD
	s_nop 1
	v_cndmask_b32_e32 v1, v1, v12, vcc
; %bb.53:                               ;   in Loop: Header=BB26_11 Depth=1
	s_or_b64 exec, exec, s[18:19]
	v_add_u32_e32 v50, s5, v50
	v_lshl_add_u64 v[2:3], v[50:51], 1, s[8:9]
	global_store_short_d16_hi v[2:3], v1, off
	v_and_b32_e32 v1, 0x7f800000, v8
	v_cmp_ne_u32_e32 vcc, s24, v1
                                        ; implicit-def: $vgpr1
	s_and_saveexec_b64 s[18:19], vcc
	s_xor_b64 s[18:19], exec, s[18:19]
; %bb.54:                               ;   in Loop: Header=BB26_11 Depth=1
	v_bfe_u32 v1, v8, 16, 1
	v_add3_u32 v1, v8, v1, s25
                                        ; implicit-def: $vgpr8
; %bb.55:                               ;   in Loop: Header=BB26_11 Depth=1
	s_andn2_saveexec_b64 s[18:19], s[18:19]
; %bb.56:                               ;   in Loop: Header=BB26_11 Depth=1
	v_or_b32_e32 v1, 0x10000, v8
	v_cmp_eq_u32_sdwa vcc, v8, v51 src0_sel:WORD_0 src1_sel:DWORD
	s_nop 1
	v_cndmask_b32_e32 v1, v1, v8, vcc
; %bb.57:                               ;   in Loop: Header=BB26_11 Depth=1
	s_or_b64 exec, exec, s[18:19]
	global_store_short_d16_hi v[2:3], v1, off offset:2
	v_and_b32_e32 v1, 0x7f800000, v4
	v_cmp_ne_u32_e32 vcc, s24, v1
                                        ; implicit-def: $vgpr1
	s_and_saveexec_b64 s[18:19], vcc
	s_xor_b64 s[18:19], exec, s[18:19]
; %bb.58:                               ;   in Loop: Header=BB26_11 Depth=1
	v_bfe_u32 v1, v4, 16, 1
	v_add3_u32 v1, v4, v1, s25
                                        ; implicit-def: $vgpr4
; %bb.59:                               ;   in Loop: Header=BB26_11 Depth=1
	s_andn2_saveexec_b64 s[18:19], s[18:19]
; %bb.60:                               ;   in Loop: Header=BB26_11 Depth=1
	v_or_b32_e32 v1, 0x10000, v4
	v_cmp_eq_u32_sdwa vcc, v4, v51 src0_sel:WORD_0 src1_sel:DWORD
	s_nop 1
	v_cndmask_b32_e32 v1, v1, v4, vcc
; %bb.61:                               ;   in Loop: Header=BB26_11 Depth=1
	s_or_b64 exec, exec, s[18:19]
	v_add_u32_e32 v2, 2, v50
	v_mov_b32_e32 v3, v51
	v_lshl_add_u64 v[2:3], v[2:3], 1, s[8:9]
	global_store_short_d16_hi v[2:3], v1, off
	v_and_b32_e32 v1, 0x7f800000, v0
	v_cmp_ne_u32_e32 vcc, s24, v1
                                        ; implicit-def: $vgpr1
	s_and_saveexec_b64 s[18:19], vcc
	s_xor_b64 s[18:19], exec, s[18:19]
; %bb.62:                               ;   in Loop: Header=BB26_11 Depth=1
	v_bfe_u32 v1, v0, 16, 1
	v_add3_u32 v1, v0, v1, s25
                                        ; implicit-def: $vgpr0
; %bb.63:                               ;   in Loop: Header=BB26_11 Depth=1
	s_andn2_saveexec_b64 s[18:19], s[18:19]
	s_cbranch_execz .LBB26_9
; %bb.64:                               ;   in Loop: Header=BB26_11 Depth=1
	v_or_b32_e32 v1, 0x10000, v0
	v_cmp_eq_u32_sdwa vcc, v0, v51 src0_sel:WORD_0 src1_sel:DWORD
	s_nop 1
	v_cndmask_b32_e32 v1, v1, v0, vcc
	s_branch .LBB26_9
.LBB26_65:
	s_endpgm
	.section	.rodata,"a",@progbits
	.p2align	6, 0x0
	.amdhsa_kernel _Z16wvSplitK_hf_sml_I14__hip_bfloat16Li64ELi4ELi16ELi8ELi1ELi3EEviiPKT_S3_PS1_ii
		.amdhsa_group_segment_fixed_size 65536
		.amdhsa_private_segment_fixed_size 0
		.amdhsa_kernarg_size 40
		.amdhsa_user_sgpr_count 2
		.amdhsa_user_sgpr_dispatch_ptr 0
		.amdhsa_user_sgpr_queue_ptr 0
		.amdhsa_user_sgpr_kernarg_segment_ptr 1
		.amdhsa_user_sgpr_dispatch_id 0
		.amdhsa_user_sgpr_kernarg_preload_length 0
		.amdhsa_user_sgpr_kernarg_preload_offset 0
		.amdhsa_user_sgpr_private_segment_size 0
		.amdhsa_uses_dynamic_stack 0
		.amdhsa_enable_private_segment 0
		.amdhsa_system_sgpr_workgroup_id_x 1
		.amdhsa_system_sgpr_workgroup_id_y 0
		.amdhsa_system_sgpr_workgroup_id_z 0
		.amdhsa_system_sgpr_workgroup_info 0
		.amdhsa_system_vgpr_workitem_id 1
		.amdhsa_next_free_vgpr 84
		.amdhsa_next_free_sgpr 26
		.amdhsa_accum_offset 84
		.amdhsa_reserve_vcc 1
		.amdhsa_float_round_mode_32 0
		.amdhsa_float_round_mode_16_64 0
		.amdhsa_float_denorm_mode_32 3
		.amdhsa_float_denorm_mode_16_64 3
		.amdhsa_dx10_clamp 1
		.amdhsa_ieee_mode 1
		.amdhsa_fp16_overflow 0
		.amdhsa_tg_split 0
		.amdhsa_exception_fp_ieee_invalid_op 0
		.amdhsa_exception_fp_denorm_src 0
		.amdhsa_exception_fp_ieee_div_zero 0
		.amdhsa_exception_fp_ieee_overflow 0
		.amdhsa_exception_fp_ieee_underflow 0
		.amdhsa_exception_fp_ieee_inexact 0
		.amdhsa_exception_int_div_zero 0
	.end_amdhsa_kernel
	.section	.text._Z16wvSplitK_hf_sml_I14__hip_bfloat16Li64ELi4ELi16ELi8ELi1ELi3EEviiPKT_S3_PS1_ii,"axG",@progbits,_Z16wvSplitK_hf_sml_I14__hip_bfloat16Li64ELi4ELi16ELi8ELi1ELi3EEviiPKT_S3_PS1_ii,comdat
.Lfunc_end26:
	.size	_Z16wvSplitK_hf_sml_I14__hip_bfloat16Li64ELi4ELi16ELi8ELi1ELi3EEviiPKT_S3_PS1_ii, .Lfunc_end26-_Z16wvSplitK_hf_sml_I14__hip_bfloat16Li64ELi4ELi16ELi8ELi1ELi3EEviiPKT_S3_PS1_ii
                                        ; -- End function
	.section	.AMDGPU.csdata,"",@progbits
; Kernel info:
; codeLenInByte = 3804
; NumSgprs: 32
; NumVgprs: 84
; NumAgprs: 0
; TotalNumVgprs: 84
; ScratchSize: 0
; MemoryBound: 0
; FloatMode: 240
; IeeeMode: 1
; LDSByteSize: 65536 bytes/workgroup (compile time only)
; SGPRBlocks: 3
; VGPRBlocks: 10
; NumSGPRsForWavesPerEU: 32
; NumVGPRsForWavesPerEU: 84
; AccumOffset: 84
; Occupancy: 4
; WaveLimiterHint : 0
; COMPUTE_PGM_RSRC2:SCRATCH_EN: 0
; COMPUTE_PGM_RSRC2:USER_SGPR: 2
; COMPUTE_PGM_RSRC2:TRAP_HANDLER: 0
; COMPUTE_PGM_RSRC2:TGID_X_EN: 1
; COMPUTE_PGM_RSRC2:TGID_Y_EN: 0
; COMPUTE_PGM_RSRC2:TGID_Z_EN: 0
; COMPUTE_PGM_RSRC2:TIDIG_COMP_CNT: 1
; COMPUTE_PGM_RSRC3_GFX90A:ACCUM_OFFSET: 20
; COMPUTE_PGM_RSRC3_GFX90A:TG_SPLIT: 0
	.section	.text._Z12wvSplitK_hf_I14__hip_bfloat16Li64ELi7ELi16ELi8ELi1ELi3EEviiPKT_S3_PS1_ii,"axG",@progbits,_Z12wvSplitK_hf_I14__hip_bfloat16Li64ELi7ELi16ELi8ELi1ELi3EEviiPKT_S3_PS1_ii,comdat
	.protected	_Z12wvSplitK_hf_I14__hip_bfloat16Li64ELi7ELi16ELi8ELi1ELi3EEviiPKT_S3_PS1_ii ; -- Begin function _Z12wvSplitK_hf_I14__hip_bfloat16Li64ELi7ELi16ELi8ELi1ELi3EEviiPKT_S3_PS1_ii
	.globl	_Z12wvSplitK_hf_I14__hip_bfloat16Li64ELi7ELi16ELi8ELi1ELi3EEviiPKT_S3_PS1_ii
	.p2align	8
	.type	_Z12wvSplitK_hf_I14__hip_bfloat16Li64ELi7ELi16ELi8ELi1ELi3EEviiPKT_S3_PS1_ii,@function
_Z12wvSplitK_hf_I14__hip_bfloat16Li64ELi7ELi16ELi8ELi1ELi3EEviiPKT_S3_PS1_ii: ; @_Z12wvSplitK_hf_I14__hip_bfloat16Li64ELi7ELi16ELi8ELi1ELi3EEviiPKT_S3_PS1_ii
; %bb.0:
	s_load_dwordx2 s[6:7], s[0:1], 0x0
	s_load_dwordx2 s[8:9], s[0:1], 0x10
	v_and_b32_e32 v2, 0x3ff, v0
	v_bfe_u32 v3, v0, 10, 10
	v_lshlrev_b32_e32 v127, 3, v2
	s_waitcnt lgkmcnt(0)
	s_cmp_lg_u32 s6, 0
	s_cselect_b64 s[4:5], -1, 0
	s_cmp_eq_u32 s6, 0
	s_mov_b32 s3, 0
	s_cbranch_scc1 .LBB27_6
; %bb.1:
	s_mul_i32 s10, s6, 3
	v_lshlrev_b32_e32 v0, 4, v2
	s_min_i32 s16, s10, 0x8000
	v_lshl_add_u32 v4, v3, 10, v0
	v_lshl_add_u32 v5, v3, 9, v127
	s_mov_b64 s[10:11], 0
	v_mov_b32_e32 v1, 0
                                        ; implicit-def: $sgpr12_sgpr13
	s_branch .LBB27_3
.LBB27_2:                               ;   in Loop: Header=BB27_3 Depth=1
	s_or_b64 exec, exec, s[14:15]
	s_and_b64 s[14:15], exec, s[12:13]
	s_or_b64 s[10:11], s[14:15], s[10:11]
	s_andn2_b64 exec, exec, s[10:11]
	s_cbranch_execz .LBB27_5
.LBB27_3:                               ; =>This Inner Loop Header: Depth=1
	v_add_u32_e32 v0, s3, v5
	v_cmp_gt_u32_e32 vcc, s16, v0
	s_or_b64 s[12:13], s[12:13], exec
	s_and_saveexec_b64 s[14:15], vcc
	s_cbranch_execz .LBB27_2
; %bb.4:                                ;   in Loop: Header=BB27_3 Depth=1
	v_lshl_add_u64 v[6:7], v[0:1], 1, s[8:9]
	global_load_dwordx4 v[6:9], v[6:7], off
	s_addk_i32 s3, 0x2000
	s_cmp_ge_u32 s3, s16
	s_cselect_b64 s[18:19], -1, 0
	s_andn2_b64 s[12:13], s[12:13], exec
	s_and_b64 s[18:19], s[18:19], exec
	s_or_b64 s[12:13], s[12:13], s[18:19]
	s_waitcnt vmcnt(0)
	ds_write_b128 v4, v[6:9]
	v_add_u32_e32 v4, 0x4000, v4
	s_branch .LBB27_2
.LBB27_5:
	s_or_b64 exec, exec, s[10:11]
.LBB27_6:
	s_load_dwordx2 s[14:15], s[0:1], 0x20
	s_add_i32 s22, s7, -7
	v_mov_b32_e32 v0, s22
	s_waitcnt lgkmcnt(0)
	s_barrier
	s_mul_i32 s2, s2, s14
	v_add_u32_e32 v1, s2, v3
	v_mul_lo_u32 v1, v1, 7
	v_add_u32_e32 v4, 7, v1
	v_cmp_le_u32_e32 vcc, s7, v1
	v_cmp_gt_u32_e64 s[2:3], s7, v4
	s_or_b64 vcc, vcc, s[2:3]
	v_cndmask_b32_e32 v40, v0, v1, vcc
	v_cmp_gt_u32_e32 vcc, s14, v3
	v_cmp_gt_u32_e64 s[2:3], s7, v40
	s_and_b64 s[2:3], vcc, s[2:3]
	s_and_saveexec_b64 s[10:11], s[2:3]
	s_cbranch_execz .LBB27_119
; %bb.7:
	s_load_dwordx2 s[10:11], s[0:1], 0x8
	s_load_dwordx2 s[12:13], s[0:1], 0x18
	s_mul_i32 s23, s14, s15
	s_ashr_i32 s15, s6, 31
	s_mov_b32 s14, s6
	v_cndmask_b32_e64 v0, 0, 1, s[4:5]
	v_cmp_eq_u32_e64 s[0:1], 63, v2
	s_mul_i32 s23, s23, 7
	s_lshl_b64 s[16:17], s[14:15], 1
	s_mov_b64 s[18:19], 0
	v_cmp_ne_u32_e64 s[2:3], 1, v0
	v_mov_b32_e32 v125, 0
	s_movk_i32 s24, 0x7fff
	s_mov_b32 s25, 0x7f800000
                                        ; implicit-def: $vgpr38_vgpr39
                                        ; implicit-def: $vgpr34_vgpr35
                                        ; implicit-def: $vgpr30_vgpr31
                                        ; implicit-def: $vgpr24_vgpr25_vgpr26_vgpr27
                                        ; implicit-def: $vgpr20_vgpr21_vgpr22_vgpr23
                                        ; implicit-def: $vgpr16_vgpr17_vgpr18_vgpr19
                                        ; implicit-def: $vgpr12_vgpr13_vgpr14_vgpr15
                                        ; implicit-def: $vgpr8_vgpr9_vgpr10_vgpr11
                                        ; implicit-def: $vgpr4_vgpr5_vgpr6_vgpr7
                                        ; implicit-def: $vgpr0_vgpr1_vgpr2_vgpr3
	s_branch .LBB27_10
.LBB27_8:                               ;   in Loop: Header=BB27_10 Depth=1
	s_or_b64 exec, exec, s[20:21]
	v_add_u32_e32 v124, 6, v124
	v_lshl_add_u64 v[42:43], v[124:125], 1, s[12:13]
	global_store_short_d16_hi v[42:43], v41, off
.LBB27_9:                               ;   in Loop: Header=BB27_10 Depth=1
	s_or_b64 exec, exec, s[4:5]
	s_waitcnt vmcnt(0)
	v_add_u32_e32 v40, s23, v46
	v_add_u32_e32 v41, 7, v40
	v_cmp_le_u32_e32 vcc, s7, v40
	v_cmp_gt_u32_e64 s[4:5], s7, v41
	v_mov_b32_e32 v41, s22
	s_or_b64 vcc, vcc, s[4:5]
	v_cndmask_b32_e32 v40, v41, v40, vcc
	v_cmp_le_u32_e32 vcc, s7, v40
	s_or_b64 s[18:19], vcc, s[18:19]
	s_andn2_b64 exec, exec, s[18:19]
	s_cbranch_execz .LBB27_119
.LBB27_10:                              ; =>This Loop Header: Depth=1
                                        ;     Child Loop BB27_13 Depth 2
	s_and_b64 vcc, exec, s[2:3]
	scratch_store_dwordx2 off, v[40:41], off offset:4 ; 8-byte Folded Spill
	s_cbranch_vccnz .LBB27_33
; %bb.11:                               ;   in Loop: Header=BB27_10 Depth=1
	v_mul_lo_u32 v40, v40, s6
	scratch_store_dword off, v40, off       ; 4-byte Folded Spill
	v_mov_b32_e32 v40, 0
	s_mov_b32 s26, 0
	v_mov_b32_e32 v41, v40
	v_mov_b32_e32 v42, v40
	;; [unrolled: 1-line block ×83, first 2 shown]
	s_branch .LBB27_13
.LBB27_12:                              ;   in Loop: Header=BB27_13 Depth=2
	s_or_b64 exec, exec, s[4:5]
	s_addk_i32 s26, 0x200
	s_cmp_ge_u32 s26, s6
	s_cbranch_scc1 .LBB27_34
.LBB27_13:                              ;   Parent Loop BB27_10 Depth=1
                                        ; =>  This Inner Loop Header: Depth=2
	v_add_u32_e32 v126, s26, v127
	v_cmp_gt_u32_e32 vcc, s6, v126
	s_and_saveexec_b64 s[20:21], vcc
	s_cbranch_execnz .LBB27_17
; %bb.14:                               ;   in Loop: Header=BB27_13 Depth=2
	s_or_b64 exec, exec, s[20:21]
	s_and_saveexec_b64 s[4:5], vcc
	s_cbranch_execnz .LBB27_30
.LBB27_15:                              ;   in Loop: Header=BB27_13 Depth=2
	s_or_b64 exec, exec, s[4:5]
	s_and_saveexec_b64 s[4:5], vcc
	s_cbranch_execnz .LBB27_31
.LBB27_16:                              ;   in Loop: Header=BB27_13 Depth=2
	s_or_b64 exec, exec, s[4:5]
	s_and_saveexec_b64 s[4:5], vcc
	s_cbranch_execz .LBB27_12
	s_branch .LBB27_32
.LBB27_17:                              ;   in Loop: Header=BB27_13 Depth=2
	scratch_load_dword v0, off, off         ; 4-byte Folded Reload
	v_cmp_lt_u32_e64 s[4:5], s24, v126
                                        ; implicit-def: $vgpr28_vgpr29
	s_waitcnt vmcnt(0)
	v_add_u32_e32 v124, v126, v0
	s_waitcnt lgkmcnt(0)
	v_lshl_add_u64 v[0:1], v[124:125], 1, s[10:11]
	v_lshl_add_u64 v[8:9], s[14:15], 1, v[0:1]
	global_load_dwordx4 v[0:3], v[0:1], off nt
	s_nop 0
	global_load_dwordx4 v[4:7], v[8:9], off nt
	v_lshl_add_u64 v[8:9], v[8:9], 0, s[16:17]
	v_lshl_add_u64 v[16:17], v[8:9], 0, s[16:17]
	global_load_dwordx4 v[8:11], v[8:9], off nt
	s_nop 0
	global_load_dwordx4 v[12:15], v[16:17], off nt
	v_lshl_add_u64 v[16:17], v[16:17], 0, s[16:17]
	v_lshl_add_u64 v[24:25], v[16:17], 0, s[16:17]
	global_load_dwordx4 v[16:19], v[16:17], off nt
	s_nop 0
	global_load_dwordx4 v[20:23], v[24:25], off nt
	v_lshl_add_u64 v[24:25], v[24:25], 0, s[16:17]
	global_load_dwordx4 v[24:27], v[24:25], off nt
	s_and_saveexec_b64 s[28:29], s[4:5]
	s_xor_b64 s[4:5], exec, s[28:29]
	s_cbranch_execz .LBB27_19
; %bb.18:                               ;   in Loop: Header=BB27_13 Depth=2
	v_mov_b32_e32 v30, v127
	v_mov_b32_e32 v127, v125
	v_lshl_add_u64 v[28:29], v[126:127], 1, s[8:9]
	v_mov_b32_e32 v127, v30
	global_load_dwordx4 v[28:31], v[28:29], off
.LBB27_19:                              ;   in Loop: Header=BB27_13 Depth=2
	s_andn2_saveexec_b64 s[4:5], s[4:5]
	s_cbranch_execz .LBB27_21
; %bb.20:                               ;   in Loop: Header=BB27_13 Depth=2
	s_waitcnt vmcnt(0)
	v_lshlrev_b32_e32 v28, 1, v126
	ds_read_b128 v[28:31], v28
.LBB27_21:                              ;   in Loop: Header=BB27_13 Depth=2
	s_or_b64 exec, exec, s[4:5]
	v_add_u32_e32 v124, s6, v126
	v_cmp_lt_u32_e64 s[4:5], s24, v124
                                        ; implicit-def: $vgpr32_vgpr33
	s_and_saveexec_b64 s[28:29], s[4:5]
	s_xor_b64 s[4:5], exec, s[28:29]
	s_cbranch_execz .LBB27_23
; %bb.22:                               ;   in Loop: Header=BB27_13 Depth=2
	v_lshl_add_u64 v[32:33], v[124:125], 1, s[8:9]
	global_load_dwordx4 v[32:35], v[32:33], off
.LBB27_23:                              ;   in Loop: Header=BB27_13 Depth=2
	s_andn2_saveexec_b64 s[4:5], s[4:5]
	s_cbranch_execz .LBB27_25
; %bb.24:                               ;   in Loop: Header=BB27_13 Depth=2
	s_waitcnt vmcnt(0)
	v_lshlrev_b32_e32 v32, 1, v124
	ds_read_b128 v[32:35], v32
.LBB27_25:                              ;   in Loop: Header=BB27_13 Depth=2
	s_or_b64 exec, exec, s[4:5]
	v_add_u32_e32 v124, s6, v124
	v_cmp_lt_u32_e64 s[4:5], s24, v124
                                        ; implicit-def: $vgpr36_vgpr37
	s_and_saveexec_b64 s[28:29], s[4:5]
	s_xor_b64 s[4:5], exec, s[28:29]
	s_cbranch_execz .LBB27_27
; %bb.26:                               ;   in Loop: Header=BB27_13 Depth=2
	v_lshl_add_u64 v[36:37], v[124:125], 1, s[8:9]
	global_load_dwordx4 v[36:39], v[36:37], off
.LBB27_27:                              ;   in Loop: Header=BB27_13 Depth=2
	s_andn2_saveexec_b64 s[4:5], s[4:5]
	s_cbranch_execz .LBB27_29
; %bb.28:                               ;   in Loop: Header=BB27_13 Depth=2
	s_waitcnt vmcnt(0)
	v_lshlrev_b32_e32 v38, 1, v124
	ds_read2_b32 v[36:37], v38 offset1:1
	ds_read2_b32 v[38:39], v38 offset0:2 offset1:3
.LBB27_29:                              ;   in Loop: Header=BB27_13 Depth=2
	s_or_b64 exec, exec, s[4:5]
	s_or_b64 exec, exec, s[20:21]
	s_and_saveexec_b64 s[4:5], vcc
	s_cbranch_execz .LBB27_15
.LBB27_30:                              ;   in Loop: Header=BB27_13 Depth=2
	s_waitcnt vmcnt(0) lgkmcnt(0)
	v_mfma_f32_4x4x4_16b_bf16 v[120:123], v[28:29], v[0:1], v[120:123]
	v_mfma_f32_4x4x4_16b_bf16 v[116:119], v[28:29], v[4:5], v[116:119]
	;; [unrolled: 1-line block ×14, first 2 shown]
	s_or_b64 exec, exec, s[4:5]
	s_and_saveexec_b64 s[4:5], vcc
	s_cbranch_execz .LBB27_16
.LBB27_31:                              ;   in Loop: Header=BB27_13 Depth=2
	s_waitcnt vmcnt(0) lgkmcnt(0)
	v_mfma_f32_4x4x4_16b_bf16 v[92:95], v[32:33], v[0:1], v[92:95]
	v_mfma_f32_4x4x4_16b_bf16 v[88:91], v[32:33], v[4:5], v[88:91]
	;; [unrolled: 1-line block ×14, first 2 shown]
	s_or_b64 exec, exec, s[4:5]
	s_and_saveexec_b64 s[4:5], vcc
	s_cbranch_execz .LBB27_12
.LBB27_32:                              ;   in Loop: Header=BB27_13 Depth=2
	s_waitcnt vmcnt(0) lgkmcnt(0)
	v_mfma_f32_4x4x4_16b_bf16 v[64:67], v[36:37], v[0:1], v[64:67]
	v_mfma_f32_4x4x4_16b_bf16 v[60:63], v[36:37], v[4:5], v[60:63]
	;; [unrolled: 1-line block ×14, first 2 shown]
	s_branch .LBB27_12
.LBB27_33:                              ;   in Loop: Header=BB27_10 Depth=1
	v_mov_b32_e32 v123, v125
	v_mov_b32_e32 v122, v125
	;; [unrolled: 1-line block ×84, first 2 shown]
.LBB27_34:                              ;   in Loop: Header=BB27_10 Depth=1
	;;#ASMSTART
	s_nop 0
	v_add_f32 v120, v121, v120 row_shl:1 bound_ctrl:0 
	;;#ASMEND
	;;#ASMSTART
	s_nop 0
	v_add_f32 v116, v117, v116 row_shl:1 bound_ctrl:0 
	;;#ASMEND
	;;#ASMSTART
	s_nop 0
	v_add_f32 v112, v113, v112 row_shl:1 bound_ctrl:0 
	;;#ASMEND
	;;#ASMSTART
	s_nop 0
	v_add_f32 v108, v109, v108 row_shl:1 bound_ctrl:0 
	;;#ASMEND
	;;#ASMSTART
	s_nop 0
	v_add_f32 v104, v105, v104 row_shl:1 bound_ctrl:0 
	;;#ASMEND
	;;#ASMSTART
	s_nop 0
	v_add_f32 v100, v101, v100 row_shl:1 bound_ctrl:0 
	;;#ASMEND
	;;#ASMSTART
	s_nop 0
	v_add_f32 v96, v97, v96 row_shl:1 bound_ctrl:0 
	;;#ASMEND
	;;#ASMSTART
	s_nop 0
	v_add_f32 v92, v93, v92 row_shl:1 bound_ctrl:0 
	;;#ASMEND
	;;#ASMSTART
	s_nop 0
	v_add_f32 v88, v89, v88 row_shl:1 bound_ctrl:0 
	;;#ASMEND
	;;#ASMSTART
	s_nop 0
	v_add_f32 v84, v85, v84 row_shl:1 bound_ctrl:0 
	;;#ASMEND
	;;#ASMSTART
	s_nop 0
	v_add_f32 v80, v81, v80 row_shl:1 bound_ctrl:0 
	;;#ASMEND
	;;#ASMSTART
	s_nop 0
	v_add_f32 v76, v77, v76 row_shl:1 bound_ctrl:0 
	;;#ASMEND
	;;#ASMSTART
	s_nop 0
	v_add_f32 v72, v73, v72 row_shl:1 bound_ctrl:0 
	;;#ASMEND
	;;#ASMSTART
	s_nop 0
	v_add_f32 v68, v69, v68 row_shl:1 bound_ctrl:0 
	;;#ASMEND
	;;#ASMSTART
	s_nop 0
	v_add_f32 v64, v65, v64 row_shl:1 bound_ctrl:0 
	;;#ASMEND
	;;#ASMSTART
	s_nop 0
	v_add_f32 v60, v61, v60 row_shl:1 bound_ctrl:0 
	;;#ASMEND
	;;#ASMSTART
	s_nop 0
	v_add_f32 v56, v57, v56 row_shl:1 bound_ctrl:0 
	;;#ASMEND
	;;#ASMSTART
	s_nop 0
	v_add_f32 v52, v53, v52 row_shl:1 bound_ctrl:0 
	;;#ASMEND
	;;#ASMSTART
	s_nop 0
	v_add_f32 v48, v49, v48 row_shl:1 bound_ctrl:0 
	;;#ASMEND
	;;#ASMSTART
	s_nop 0
	v_add_f32 v44, v45, v44 row_shl:1 bound_ctrl:0 
	;;#ASMEND
	;;#ASMSTART
	s_nop 0
	v_add_f32 v40, v41, v40 row_shl:1 bound_ctrl:0 
	;;#ASMEND
	s_nop 0
	;;#ASMSTART
	s_nop 0
	v_add_f32 v120, v122, v120 row_shl:2 bound_ctrl:0 
	;;#ASMEND
	;;#ASMSTART
	s_nop 0
	v_add_f32 v116, v118, v116 row_shl:2 bound_ctrl:0 
	;;#ASMEND
	;; [unrolled: 4-line block ×21, first 2 shown]
	s_nop 0
	;;#ASMSTART
	s_nop 0
	v_add_f32 v120, v123, v120 row_shl:3 bound_ctrl:0 
	;;#ASMEND
	;;#ASMSTART
	s_nop 0
	v_add_f32 v116, v119, v116 row_shl:3 bound_ctrl:0 
	;;#ASMEND
	;; [unrolled: 4-line block ×21, first 2 shown]
	s_nop 0
	;;#ASMSTART
	s_nop 0
	v_add_f32 v120, v120, v120 row_shl:4 bound_ctrl:0 
	;;#ASMEND
	;;#ASMSTART
	s_nop 0
	v_add_f32 v116, v116, v116 row_shl:4 bound_ctrl:0 
	;;#ASMEND
	;; [unrolled: 4-line block ×21, first 2 shown]
	s_nop 0
	;;#ASMSTART
	s_nop 0
	v_add_f32 v120, v120, v120 row_shl:8 bound_ctrl:0 
	;;#ASMEND
	;;#ASMSTART
	s_nop 0
	v_add_f32 v116, v116, v116 row_shl:8 bound_ctrl:0 
	;;#ASMEND
	;; [unrolled: 4-line block ×21, first 2 shown]
	s_nop 0
	;;#ASMSTART
	s_nop 0
	v_mov_b32 v120, v120 row_shr:15 bound_ctrl:0 
	;;#ASMEND
	;;#ASMSTART
	s_nop 0
	v_mov_b32 v116, v116 row_shr:15 bound_ctrl:0 
	;;#ASMEND
	;; [unrolled: 4-line block ×21, first 2 shown]
	s_nop 0
	;;#ASMSTART
	s_nop 0
	v_add_f32 v120, v120, v120 row_bcast:15 bound_ctrl:0
	;;#ASMEND
	;;#ASMSTART
	s_nop 0
	v_add_f32 v116, v116, v116 row_bcast:15 bound_ctrl:0
	;;#ASMEND
	;; [unrolled: 4-line block ×21, first 2 shown]
	s_nop 0
	;;#ASMSTART
	s_nop 0
	v_add_f32 v120, v120, v120 row_bcast:31 bound_ctrl:0
	;;#ASMEND
	;;#ASMSTART
	s_nop 0
	v_add_f32 v116, v116, v116 row_bcast:31 bound_ctrl:0
	;;#ASMEND
	;;#ASMSTART
	s_nop 0
	v_add_f32 v112, v112, v112 row_bcast:31 bound_ctrl:0
	;;#ASMEND
	;;#ASMSTART
	s_nop 0
	v_add_f32 v108, v108, v108 row_bcast:31 bound_ctrl:0
	;;#ASMEND
	;;#ASMSTART
	s_nop 0
	v_add_f32 v104, v104, v104 row_bcast:31 bound_ctrl:0
	;;#ASMEND
	;;#ASMSTART
	s_nop 0
	v_add_f32 v100, v100, v100 row_bcast:31 bound_ctrl:0
	;;#ASMEND
	;;#ASMSTART
	s_nop 0
	v_add_f32 v96, v96, v96 row_bcast:31 bound_ctrl:0
	;;#ASMEND
	;;#ASMSTART
	s_nop 0
	v_add_f32 v92, v92, v92 row_bcast:31 bound_ctrl:0
	;;#ASMEND
	;;#ASMSTART
	s_nop 0
	v_add_f32 v88, v88, v88 row_bcast:31 bound_ctrl:0
	;;#ASMEND
	;;#ASMSTART
	s_nop 0
	v_add_f32 v84, v84, v84 row_bcast:31 bound_ctrl:0
	;;#ASMEND
	;;#ASMSTART
	s_nop 0
	v_add_f32 v80, v80, v80 row_bcast:31 bound_ctrl:0
	;;#ASMEND
	;;#ASMSTART
	s_nop 0
	v_add_f32 v76, v76, v76 row_bcast:31 bound_ctrl:0
	;;#ASMEND
	;;#ASMSTART
	s_nop 0
	v_add_f32 v72, v72, v72 row_bcast:31 bound_ctrl:0
	;;#ASMEND
	;;#ASMSTART
	s_nop 0
	v_add_f32 v68, v68, v68 row_bcast:31 bound_ctrl:0
	;;#ASMEND
	;;#ASMSTART
	s_nop 0
	v_add_f32 v64, v64, v64 row_bcast:31 bound_ctrl:0
	;;#ASMEND
	;;#ASMSTART
	s_nop 0
	v_add_f32 v60, v60, v60 row_bcast:31 bound_ctrl:0
	;;#ASMEND
	;;#ASMSTART
	s_nop 0
	v_add_f32 v56, v56, v56 row_bcast:31 bound_ctrl:0
	;;#ASMEND
	;;#ASMSTART
	s_nop 0
	v_add_f32 v52, v52, v52 row_bcast:31 bound_ctrl:0
	;;#ASMEND
	;;#ASMSTART
	s_nop 0
	v_add_f32 v48, v48, v48 row_bcast:31 bound_ctrl:0
	;;#ASMEND
	;;#ASMSTART
	s_nop 0
	v_add_f32 v44, v44, v44 row_bcast:31 bound_ctrl:0
	;;#ASMEND
	;;#ASMSTART
	s_nop 0
	v_add_f32 v40, v40, v40 row_bcast:31 bound_ctrl:0
	;;#ASMEND
	s_mov_b64 s[4:5], exec
	scratch_load_dwordx2 v[46:47], off, off offset:4 ; 8-byte Folded Reload
	s_and_b64 s[20:21], s[4:5], s[0:1]
	s_mov_b64 exec, s[20:21]
	s_cbranch_execz .LBB27_9
; %bb.35:                               ;   in Loop: Header=BB27_10 Depth=1
	v_and_b32_e32 v41, 0x7f800000, v120
	v_cmp_ne_u32_e32 vcc, s25, v41
                                        ; implicit-def: $vgpr41
	s_and_saveexec_b64 s[20:21], vcc
	s_xor_b64 s[20:21], exec, s[20:21]
; %bb.36:                               ;   in Loop: Header=BB27_10 Depth=1
	v_bfe_u32 v41, v120, 16, 1
	v_add3_u32 v41, v120, v41, s24
                                        ; implicit-def: $vgpr120
; %bb.37:                               ;   in Loop: Header=BB27_10 Depth=1
	s_andn2_saveexec_b64 s[20:21], s[20:21]
; %bb.38:                               ;   in Loop: Header=BB27_10 Depth=1
	v_or_b32_e32 v41, 0x10000, v120
	v_cmp_eq_u32_sdwa vcc, v120, v125 src0_sel:WORD_0 src1_sel:DWORD
	s_nop 1
	v_cndmask_b32_e32 v41, v41, v120, vcc
; %bb.39:                               ;   in Loop: Header=BB27_10 Depth=1
	s_or_b64 exec, exec, s[20:21]
	s_waitcnt vmcnt(0)
	v_mov_b32_e32 v47, v125
	s_waitcnt lgkmcnt(0)
	v_lshl_add_u64 v[42:43], v[46:47], 1, s[12:13]
	global_store_short_d16_hi v[42:43], v41, off
	v_and_b32_e32 v41, 0x7f800000, v116
	v_cmp_ne_u32_e32 vcc, s25, v41
                                        ; implicit-def: $vgpr41
	s_and_saveexec_b64 s[20:21], vcc
	s_xor_b64 s[20:21], exec, s[20:21]
; %bb.40:                               ;   in Loop: Header=BB27_10 Depth=1
	v_bfe_u32 v41, v116, 16, 1
	v_add3_u32 v41, v116, v41, s24
                                        ; implicit-def: $vgpr116
; %bb.41:                               ;   in Loop: Header=BB27_10 Depth=1
	s_andn2_saveexec_b64 s[20:21], s[20:21]
; %bb.42:                               ;   in Loop: Header=BB27_10 Depth=1
	v_or_b32_e32 v41, 0x10000, v116
	v_cmp_eq_u32_sdwa vcc, v116, v125 src0_sel:WORD_0 src1_sel:DWORD
	s_nop 1
	v_cndmask_b32_e32 v41, v41, v116, vcc
; %bb.43:                               ;   in Loop: Header=BB27_10 Depth=1
	s_or_b64 exec, exec, s[20:21]
	v_add_u32_e32 v124, 1, v46
	v_lshl_add_u64 v[42:43], v[124:125], 1, s[12:13]
	global_store_short_d16_hi v[42:43], v41, off
	v_and_b32_e32 v41, 0x7f800000, v112
	v_cmp_ne_u32_e32 vcc, s25, v41
                                        ; implicit-def: $vgpr41
	s_and_saveexec_b64 s[20:21], vcc
	s_xor_b64 s[20:21], exec, s[20:21]
; %bb.44:                               ;   in Loop: Header=BB27_10 Depth=1
	v_bfe_u32 v41, v112, 16, 1
	v_add3_u32 v41, v112, v41, s24
                                        ; implicit-def: $vgpr112
; %bb.45:                               ;   in Loop: Header=BB27_10 Depth=1
	s_andn2_saveexec_b64 s[20:21], s[20:21]
; %bb.46:                               ;   in Loop: Header=BB27_10 Depth=1
	v_or_b32_e32 v41, 0x10000, v112
	v_cmp_eq_u32_sdwa vcc, v112, v125 src0_sel:WORD_0 src1_sel:DWORD
	s_nop 1
	v_cndmask_b32_e32 v41, v41, v112, vcc
; %bb.47:                               ;   in Loop: Header=BB27_10 Depth=1
	s_or_b64 exec, exec, s[20:21]
	v_add_u32_e32 v124, 2, v46
	v_lshl_add_u64 v[42:43], v[124:125], 1, s[12:13]
	global_store_short_d16_hi v[42:43], v41, off
	v_and_b32_e32 v41, 0x7f800000, v108
	v_cmp_ne_u32_e32 vcc, s25, v41
                                        ; implicit-def: $vgpr41
	s_and_saveexec_b64 s[20:21], vcc
	s_xor_b64 s[20:21], exec, s[20:21]
; %bb.48:                               ;   in Loop: Header=BB27_10 Depth=1
	v_bfe_u32 v41, v108, 16, 1
	v_add3_u32 v41, v108, v41, s24
                                        ; implicit-def: $vgpr108
; %bb.49:                               ;   in Loop: Header=BB27_10 Depth=1
	s_andn2_saveexec_b64 s[20:21], s[20:21]
; %bb.50:                               ;   in Loop: Header=BB27_10 Depth=1
	v_or_b32_e32 v41, 0x10000, v108
	v_cmp_eq_u32_sdwa vcc, v108, v125 src0_sel:WORD_0 src1_sel:DWORD
	s_nop 1
	v_cndmask_b32_e32 v41, v41, v108, vcc
; %bb.51:                               ;   in Loop: Header=BB27_10 Depth=1
	s_or_b64 exec, exec, s[20:21]
	v_add_u32_e32 v124, 3, v46
	v_lshl_add_u64 v[42:43], v[124:125], 1, s[12:13]
	global_store_short_d16_hi v[42:43], v41, off
	v_and_b32_e32 v41, 0x7f800000, v104
	v_cmp_ne_u32_e32 vcc, s25, v41
                                        ; implicit-def: $vgpr41
	s_and_saveexec_b64 s[20:21], vcc
	s_xor_b64 s[20:21], exec, s[20:21]
; %bb.52:                               ;   in Loop: Header=BB27_10 Depth=1
	v_bfe_u32 v41, v104, 16, 1
	v_add3_u32 v41, v104, v41, s24
                                        ; implicit-def: $vgpr104
; %bb.53:                               ;   in Loop: Header=BB27_10 Depth=1
	s_andn2_saveexec_b64 s[20:21], s[20:21]
; %bb.54:                               ;   in Loop: Header=BB27_10 Depth=1
	v_or_b32_e32 v41, 0x10000, v104
	v_cmp_eq_u32_sdwa vcc, v104, v125 src0_sel:WORD_0 src1_sel:DWORD
	s_nop 1
	v_cndmask_b32_e32 v41, v41, v104, vcc
; %bb.55:                               ;   in Loop: Header=BB27_10 Depth=1
	s_or_b64 exec, exec, s[20:21]
	v_add_u32_e32 v124, 4, v46
	v_lshl_add_u64 v[42:43], v[124:125], 1, s[12:13]
	global_store_short_d16_hi v[42:43], v41, off
	v_and_b32_e32 v41, 0x7f800000, v100
	v_cmp_ne_u32_e32 vcc, s25, v41
                                        ; implicit-def: $vgpr41
	s_and_saveexec_b64 s[20:21], vcc
	s_xor_b64 s[20:21], exec, s[20:21]
; %bb.56:                               ;   in Loop: Header=BB27_10 Depth=1
	v_bfe_u32 v41, v100, 16, 1
	v_add3_u32 v41, v100, v41, s24
                                        ; implicit-def: $vgpr100
; %bb.57:                               ;   in Loop: Header=BB27_10 Depth=1
	s_andn2_saveexec_b64 s[20:21], s[20:21]
; %bb.58:                               ;   in Loop: Header=BB27_10 Depth=1
	v_or_b32_e32 v41, 0x10000, v100
	v_cmp_eq_u32_sdwa vcc, v100, v125 src0_sel:WORD_0 src1_sel:DWORD
	s_nop 1
	v_cndmask_b32_e32 v41, v41, v100, vcc
; %bb.59:                               ;   in Loop: Header=BB27_10 Depth=1
	s_or_b64 exec, exec, s[20:21]
	v_add_u32_e32 v124, 5, v46
	v_lshl_add_u64 v[42:43], v[124:125], 1, s[12:13]
	global_store_short_d16_hi v[42:43], v41, off
	v_and_b32_e32 v41, 0x7f800000, v96
	v_cmp_ne_u32_e32 vcc, s25, v41
                                        ; implicit-def: $vgpr41
	s_and_saveexec_b64 s[20:21], vcc
	s_xor_b64 s[20:21], exec, s[20:21]
; %bb.60:                               ;   in Loop: Header=BB27_10 Depth=1
	v_bfe_u32 v41, v96, 16, 1
	v_add3_u32 v41, v96, v41, s24
                                        ; implicit-def: $vgpr96
; %bb.61:                               ;   in Loop: Header=BB27_10 Depth=1
	s_andn2_saveexec_b64 s[20:21], s[20:21]
; %bb.62:                               ;   in Loop: Header=BB27_10 Depth=1
	v_or_b32_e32 v41, 0x10000, v96
	v_cmp_eq_u32_sdwa vcc, v96, v125 src0_sel:WORD_0 src1_sel:DWORD
	s_nop 1
	v_cndmask_b32_e32 v41, v41, v96, vcc
; %bb.63:                               ;   in Loop: Header=BB27_10 Depth=1
	s_or_b64 exec, exec, s[20:21]
	v_add_u32_e32 v124, 6, v46
	v_lshl_add_u64 v[42:43], v[124:125], 1, s[12:13]
	global_store_short_d16_hi v[42:43], v41, off
	v_and_b32_e32 v41, 0x7f800000, v92
	v_cmp_ne_u32_e32 vcc, s25, v41
                                        ; implicit-def: $vgpr41
	s_and_saveexec_b64 s[20:21], vcc
	s_xor_b64 s[20:21], exec, s[20:21]
; %bb.64:                               ;   in Loop: Header=BB27_10 Depth=1
	v_bfe_u32 v41, v92, 16, 1
	v_add3_u32 v41, v92, v41, s24
                                        ; implicit-def: $vgpr92
; %bb.65:                               ;   in Loop: Header=BB27_10 Depth=1
	s_andn2_saveexec_b64 s[20:21], s[20:21]
; %bb.66:                               ;   in Loop: Header=BB27_10 Depth=1
	v_or_b32_e32 v41, 0x10000, v92
	v_cmp_eq_u32_sdwa vcc, v92, v125 src0_sel:WORD_0 src1_sel:DWORD
	s_nop 1
	v_cndmask_b32_e32 v41, v41, v92, vcc
; %bb.67:                               ;   in Loop: Header=BB27_10 Depth=1
	s_or_b64 exec, exec, s[20:21]
	v_add_u32_e32 v124, s7, v46
	v_lshl_add_u64 v[42:43], v[124:125], 1, s[12:13]
	global_store_short_d16_hi v[42:43], v41, off
	v_and_b32_e32 v41, 0x7f800000, v88
	v_cmp_ne_u32_e32 vcc, s25, v41
                                        ; implicit-def: $vgpr41
	s_and_saveexec_b64 s[20:21], vcc
	s_xor_b64 s[20:21], exec, s[20:21]
; %bb.68:                               ;   in Loop: Header=BB27_10 Depth=1
	v_bfe_u32 v41, v88, 16, 1
	v_add3_u32 v41, v88, v41, s24
                                        ; implicit-def: $vgpr88
; %bb.69:                               ;   in Loop: Header=BB27_10 Depth=1
	s_andn2_saveexec_b64 s[20:21], s[20:21]
; %bb.70:                               ;   in Loop: Header=BB27_10 Depth=1
	v_or_b32_e32 v41, 0x10000, v88
	v_cmp_eq_u32_sdwa vcc, v88, v125 src0_sel:WORD_0 src1_sel:DWORD
	s_nop 1
	v_cndmask_b32_e32 v41, v41, v88, vcc
; %bb.71:                               ;   in Loop: Header=BB27_10 Depth=1
	s_or_b64 exec, exec, s[20:21]
	v_add_u32_e32 v42, 1, v124
	v_mov_b32_e32 v43, v125
	v_lshl_add_u64 v[42:43], v[42:43], 1, s[12:13]
	global_store_short_d16_hi v[42:43], v41, off
	v_and_b32_e32 v41, 0x7f800000, v84
	v_cmp_ne_u32_e32 vcc, s25, v41
                                        ; implicit-def: $vgpr41
	s_and_saveexec_b64 s[20:21], vcc
	s_xor_b64 s[20:21], exec, s[20:21]
; %bb.72:                               ;   in Loop: Header=BB27_10 Depth=1
	v_bfe_u32 v41, v84, 16, 1
	v_add3_u32 v41, v84, v41, s24
                                        ; implicit-def: $vgpr84
; %bb.73:                               ;   in Loop: Header=BB27_10 Depth=1
	s_andn2_saveexec_b64 s[20:21], s[20:21]
; %bb.74:                               ;   in Loop: Header=BB27_10 Depth=1
	v_or_b32_e32 v41, 0x10000, v84
	v_cmp_eq_u32_sdwa vcc, v84, v125 src0_sel:WORD_0 src1_sel:DWORD
	s_nop 1
	v_cndmask_b32_e32 v41, v41, v84, vcc
; %bb.75:                               ;   in Loop: Header=BB27_10 Depth=1
	s_or_b64 exec, exec, s[20:21]
	v_add_u32_e32 v42, 2, v124
	v_mov_b32_e32 v43, v125
	v_lshl_add_u64 v[42:43], v[42:43], 1, s[12:13]
	global_store_short_d16_hi v[42:43], v41, off
	v_and_b32_e32 v41, 0x7f800000, v80
	v_cmp_ne_u32_e32 vcc, s25, v41
                                        ; implicit-def: $vgpr41
	s_and_saveexec_b64 s[20:21], vcc
	s_xor_b64 s[20:21], exec, s[20:21]
; %bb.76:                               ;   in Loop: Header=BB27_10 Depth=1
	v_bfe_u32 v41, v80, 16, 1
	v_add3_u32 v41, v80, v41, s24
                                        ; implicit-def: $vgpr80
; %bb.77:                               ;   in Loop: Header=BB27_10 Depth=1
	s_andn2_saveexec_b64 s[20:21], s[20:21]
; %bb.78:                               ;   in Loop: Header=BB27_10 Depth=1
	v_or_b32_e32 v41, 0x10000, v80
	v_cmp_eq_u32_sdwa vcc, v80, v125 src0_sel:WORD_0 src1_sel:DWORD
	s_nop 1
	v_cndmask_b32_e32 v41, v41, v80, vcc
; %bb.79:                               ;   in Loop: Header=BB27_10 Depth=1
	s_or_b64 exec, exec, s[20:21]
	v_add_u32_e32 v42, 3, v124
	v_mov_b32_e32 v43, v125
	v_lshl_add_u64 v[42:43], v[42:43], 1, s[12:13]
	global_store_short_d16_hi v[42:43], v41, off
	v_and_b32_e32 v41, 0x7f800000, v76
	v_cmp_ne_u32_e32 vcc, s25, v41
                                        ; implicit-def: $vgpr41
	s_and_saveexec_b64 s[20:21], vcc
	s_xor_b64 s[20:21], exec, s[20:21]
; %bb.80:                               ;   in Loop: Header=BB27_10 Depth=1
	v_bfe_u32 v41, v76, 16, 1
	v_add3_u32 v41, v76, v41, s24
                                        ; implicit-def: $vgpr76
; %bb.81:                               ;   in Loop: Header=BB27_10 Depth=1
	s_andn2_saveexec_b64 s[20:21], s[20:21]
; %bb.82:                               ;   in Loop: Header=BB27_10 Depth=1
	v_or_b32_e32 v41, 0x10000, v76
	v_cmp_eq_u32_sdwa vcc, v76, v125 src0_sel:WORD_0 src1_sel:DWORD
	s_nop 1
	v_cndmask_b32_e32 v41, v41, v76, vcc
; %bb.83:                               ;   in Loop: Header=BB27_10 Depth=1
	s_or_b64 exec, exec, s[20:21]
	v_add_u32_e32 v42, 4, v124
	v_mov_b32_e32 v43, v125
	v_lshl_add_u64 v[42:43], v[42:43], 1, s[12:13]
	global_store_short_d16_hi v[42:43], v41, off
	v_and_b32_e32 v41, 0x7f800000, v72
	v_cmp_ne_u32_e32 vcc, s25, v41
                                        ; implicit-def: $vgpr41
	s_and_saveexec_b64 s[20:21], vcc
	s_xor_b64 s[20:21], exec, s[20:21]
; %bb.84:                               ;   in Loop: Header=BB27_10 Depth=1
	v_bfe_u32 v41, v72, 16, 1
	v_add3_u32 v41, v72, v41, s24
                                        ; implicit-def: $vgpr72
; %bb.85:                               ;   in Loop: Header=BB27_10 Depth=1
	s_andn2_saveexec_b64 s[20:21], s[20:21]
; %bb.86:                               ;   in Loop: Header=BB27_10 Depth=1
	v_or_b32_e32 v41, 0x10000, v72
	v_cmp_eq_u32_sdwa vcc, v72, v125 src0_sel:WORD_0 src1_sel:DWORD
	s_nop 1
	v_cndmask_b32_e32 v41, v41, v72, vcc
; %bb.87:                               ;   in Loop: Header=BB27_10 Depth=1
	s_or_b64 exec, exec, s[20:21]
	v_add_u32_e32 v42, 5, v124
	v_mov_b32_e32 v43, v125
	v_lshl_add_u64 v[42:43], v[42:43], 1, s[12:13]
	global_store_short_d16_hi v[42:43], v41, off
	v_and_b32_e32 v41, 0x7f800000, v68
	v_cmp_ne_u32_e32 vcc, s25, v41
                                        ; implicit-def: $vgpr41
	s_and_saveexec_b64 s[20:21], vcc
	s_xor_b64 s[20:21], exec, s[20:21]
; %bb.88:                               ;   in Loop: Header=BB27_10 Depth=1
	v_bfe_u32 v41, v68, 16, 1
	v_add3_u32 v41, v68, v41, s24
                                        ; implicit-def: $vgpr68
; %bb.89:                               ;   in Loop: Header=BB27_10 Depth=1
	s_andn2_saveexec_b64 s[20:21], s[20:21]
; %bb.90:                               ;   in Loop: Header=BB27_10 Depth=1
	v_or_b32_e32 v41, 0x10000, v68
	v_cmp_eq_u32_sdwa vcc, v68, v125 src0_sel:WORD_0 src1_sel:DWORD
	s_nop 1
	v_cndmask_b32_e32 v41, v41, v68, vcc
; %bb.91:                               ;   in Loop: Header=BB27_10 Depth=1
	s_or_b64 exec, exec, s[20:21]
	v_add_u32_e32 v42, 6, v124
	v_mov_b32_e32 v43, v125
	v_lshl_add_u64 v[42:43], v[42:43], 1, s[12:13]
	global_store_short_d16_hi v[42:43], v41, off
	v_and_b32_e32 v41, 0x7f800000, v64
	v_cmp_ne_u32_e32 vcc, s25, v41
                                        ; implicit-def: $vgpr41
	s_and_saveexec_b64 s[20:21], vcc
	s_xor_b64 s[20:21], exec, s[20:21]
; %bb.92:                               ;   in Loop: Header=BB27_10 Depth=1
	v_bfe_u32 v41, v64, 16, 1
	v_add3_u32 v41, v64, v41, s24
                                        ; implicit-def: $vgpr64
; %bb.93:                               ;   in Loop: Header=BB27_10 Depth=1
	s_andn2_saveexec_b64 s[20:21], s[20:21]
; %bb.94:                               ;   in Loop: Header=BB27_10 Depth=1
	v_or_b32_e32 v41, 0x10000, v64
	v_cmp_eq_u32_sdwa vcc, v64, v125 src0_sel:WORD_0 src1_sel:DWORD
	s_nop 1
	v_cndmask_b32_e32 v41, v41, v64, vcc
; %bb.95:                               ;   in Loop: Header=BB27_10 Depth=1
	s_or_b64 exec, exec, s[20:21]
	v_add_u32_e32 v124, s7, v124
	v_lshl_add_u64 v[42:43], v[124:125], 1, s[12:13]
	global_store_short_d16_hi v[42:43], v41, off
	v_and_b32_e32 v41, 0x7f800000, v60
	v_cmp_ne_u32_e32 vcc, s25, v41
                                        ; implicit-def: $vgpr41
	s_and_saveexec_b64 s[20:21], vcc
	s_xor_b64 s[20:21], exec, s[20:21]
; %bb.96:                               ;   in Loop: Header=BB27_10 Depth=1
	v_bfe_u32 v41, v60, 16, 1
	v_add3_u32 v41, v60, v41, s24
                                        ; implicit-def: $vgpr60
; %bb.97:                               ;   in Loop: Header=BB27_10 Depth=1
	s_andn2_saveexec_b64 s[20:21], s[20:21]
; %bb.98:                               ;   in Loop: Header=BB27_10 Depth=1
	v_or_b32_e32 v41, 0x10000, v60
	v_cmp_eq_u32_sdwa vcc, v60, v125 src0_sel:WORD_0 src1_sel:DWORD
	s_nop 1
	v_cndmask_b32_e32 v41, v41, v60, vcc
; %bb.99:                               ;   in Loop: Header=BB27_10 Depth=1
	s_or_b64 exec, exec, s[20:21]
	v_add_u32_e32 v42, 1, v124
	v_mov_b32_e32 v43, v125
	v_lshl_add_u64 v[42:43], v[42:43], 1, s[12:13]
	global_store_short_d16_hi v[42:43], v41, off
	v_and_b32_e32 v41, 0x7f800000, v56
	v_cmp_ne_u32_e32 vcc, s25, v41
                                        ; implicit-def: $vgpr41
	s_and_saveexec_b64 s[20:21], vcc
	s_xor_b64 s[20:21], exec, s[20:21]
; %bb.100:                              ;   in Loop: Header=BB27_10 Depth=1
	v_bfe_u32 v41, v56, 16, 1
	v_add3_u32 v41, v56, v41, s24
                                        ; implicit-def: $vgpr56
; %bb.101:                              ;   in Loop: Header=BB27_10 Depth=1
	s_andn2_saveexec_b64 s[20:21], s[20:21]
; %bb.102:                              ;   in Loop: Header=BB27_10 Depth=1
	v_or_b32_e32 v41, 0x10000, v56
	v_cmp_eq_u32_sdwa vcc, v56, v125 src0_sel:WORD_0 src1_sel:DWORD
	s_nop 1
	v_cndmask_b32_e32 v41, v41, v56, vcc
; %bb.103:                              ;   in Loop: Header=BB27_10 Depth=1
	s_or_b64 exec, exec, s[20:21]
	v_add_u32_e32 v42, 2, v124
	v_mov_b32_e32 v43, v125
	v_lshl_add_u64 v[42:43], v[42:43], 1, s[12:13]
	global_store_short_d16_hi v[42:43], v41, off
	v_and_b32_e32 v41, 0x7f800000, v52
	v_cmp_ne_u32_e32 vcc, s25, v41
                                        ; implicit-def: $vgpr41
	s_and_saveexec_b64 s[20:21], vcc
	s_xor_b64 s[20:21], exec, s[20:21]
; %bb.104:                              ;   in Loop: Header=BB27_10 Depth=1
	v_bfe_u32 v41, v52, 16, 1
	v_add3_u32 v41, v52, v41, s24
                                        ; implicit-def: $vgpr52
; %bb.105:                              ;   in Loop: Header=BB27_10 Depth=1
	s_andn2_saveexec_b64 s[20:21], s[20:21]
; %bb.106:                              ;   in Loop: Header=BB27_10 Depth=1
	v_or_b32_e32 v41, 0x10000, v52
	v_cmp_eq_u32_sdwa vcc, v52, v125 src0_sel:WORD_0 src1_sel:DWORD
	s_nop 1
	v_cndmask_b32_e32 v41, v41, v52, vcc
; %bb.107:                              ;   in Loop: Header=BB27_10 Depth=1
	s_or_b64 exec, exec, s[20:21]
	v_add_u32_e32 v42, 3, v124
	v_mov_b32_e32 v43, v125
	v_lshl_add_u64 v[42:43], v[42:43], 1, s[12:13]
	global_store_short_d16_hi v[42:43], v41, off
	v_and_b32_e32 v41, 0x7f800000, v48
	v_cmp_ne_u32_e32 vcc, s25, v41
                                        ; implicit-def: $vgpr41
	s_and_saveexec_b64 s[20:21], vcc
	s_xor_b64 s[20:21], exec, s[20:21]
; %bb.108:                              ;   in Loop: Header=BB27_10 Depth=1
	v_bfe_u32 v41, v48, 16, 1
	v_add3_u32 v41, v48, v41, s24
                                        ; implicit-def: $vgpr48
; %bb.109:                              ;   in Loop: Header=BB27_10 Depth=1
	s_andn2_saveexec_b64 s[20:21], s[20:21]
; %bb.110:                              ;   in Loop: Header=BB27_10 Depth=1
	v_or_b32_e32 v41, 0x10000, v48
	v_cmp_eq_u32_sdwa vcc, v48, v125 src0_sel:WORD_0 src1_sel:DWORD
	s_nop 1
	v_cndmask_b32_e32 v41, v41, v48, vcc
; %bb.111:                              ;   in Loop: Header=BB27_10 Depth=1
	s_or_b64 exec, exec, s[20:21]
	v_add_u32_e32 v42, 4, v124
	v_mov_b32_e32 v43, v125
	v_lshl_add_u64 v[42:43], v[42:43], 1, s[12:13]
	global_store_short_d16_hi v[42:43], v41, off
	v_and_b32_e32 v41, 0x7f800000, v44
	v_cmp_ne_u32_e32 vcc, s25, v41
                                        ; implicit-def: $vgpr41
	s_and_saveexec_b64 s[20:21], vcc
	s_xor_b64 s[20:21], exec, s[20:21]
; %bb.112:                              ;   in Loop: Header=BB27_10 Depth=1
	v_bfe_u32 v41, v44, 16, 1
	v_add3_u32 v41, v44, v41, s24
                                        ; implicit-def: $vgpr44
; %bb.113:                              ;   in Loop: Header=BB27_10 Depth=1
	s_andn2_saveexec_b64 s[20:21], s[20:21]
; %bb.114:                              ;   in Loop: Header=BB27_10 Depth=1
	v_or_b32_e32 v41, 0x10000, v44
	v_cmp_eq_u32_sdwa vcc, v44, v125 src0_sel:WORD_0 src1_sel:DWORD
	s_nop 1
	v_cndmask_b32_e32 v41, v41, v44, vcc
; %bb.115:                              ;   in Loop: Header=BB27_10 Depth=1
	s_or_b64 exec, exec, s[20:21]
	v_add_u32_e32 v42, 5, v124
	v_mov_b32_e32 v43, v125
	v_lshl_add_u64 v[42:43], v[42:43], 1, s[12:13]
	global_store_short_d16_hi v[42:43], v41, off
	v_and_b32_e32 v41, 0x7f800000, v40
	v_cmp_ne_u32_e32 vcc, s25, v41
                                        ; implicit-def: $vgpr41
	s_and_saveexec_b64 s[20:21], vcc
	s_xor_b64 s[20:21], exec, s[20:21]
; %bb.116:                              ;   in Loop: Header=BB27_10 Depth=1
	v_bfe_u32 v41, v40, 16, 1
	v_add3_u32 v41, v40, v41, s24
                                        ; implicit-def: $vgpr40
; %bb.117:                              ;   in Loop: Header=BB27_10 Depth=1
	s_andn2_saveexec_b64 s[20:21], s[20:21]
	s_cbranch_execz .LBB27_8
; %bb.118:                              ;   in Loop: Header=BB27_10 Depth=1
	v_or_b32_e32 v41, 0x10000, v40
	v_cmp_eq_u32_sdwa vcc, v40, v125 src0_sel:WORD_0 src1_sel:DWORD
	s_nop 1
	v_cndmask_b32_e32 v41, v41, v40, vcc
	s_branch .LBB27_8
.LBB27_119:
	s_endpgm
	.section	.rodata,"a",@progbits
	.p2align	6, 0x0
	.amdhsa_kernel _Z12wvSplitK_hf_I14__hip_bfloat16Li64ELi7ELi16ELi8ELi1ELi3EEviiPKT_S3_PS1_ii
		.amdhsa_group_segment_fixed_size 65536
		.amdhsa_private_segment_fixed_size 16
		.amdhsa_kernarg_size 40
		.amdhsa_user_sgpr_count 2
		.amdhsa_user_sgpr_dispatch_ptr 0
		.amdhsa_user_sgpr_queue_ptr 0
		.amdhsa_user_sgpr_kernarg_segment_ptr 1
		.amdhsa_user_sgpr_dispatch_id 0
		.amdhsa_user_sgpr_kernarg_preload_length 0
		.amdhsa_user_sgpr_kernarg_preload_offset 0
		.amdhsa_user_sgpr_private_segment_size 0
		.amdhsa_uses_dynamic_stack 0
		.amdhsa_enable_private_segment 1
		.amdhsa_system_sgpr_workgroup_id_x 1
		.amdhsa_system_sgpr_workgroup_id_y 0
		.amdhsa_system_sgpr_workgroup_id_z 0
		.amdhsa_system_sgpr_workgroup_info 0
		.amdhsa_system_vgpr_workitem_id 1
		.amdhsa_next_free_vgpr 128
		.amdhsa_next_free_sgpr 30
		.amdhsa_accum_offset 128
		.amdhsa_reserve_vcc 1
		.amdhsa_float_round_mode_32 0
		.amdhsa_float_round_mode_16_64 0
		.amdhsa_float_denorm_mode_32 3
		.amdhsa_float_denorm_mode_16_64 3
		.amdhsa_dx10_clamp 1
		.amdhsa_ieee_mode 1
		.amdhsa_fp16_overflow 0
		.amdhsa_tg_split 0
		.amdhsa_exception_fp_ieee_invalid_op 0
		.amdhsa_exception_fp_denorm_src 0
		.amdhsa_exception_fp_ieee_div_zero 0
		.amdhsa_exception_fp_ieee_overflow 0
		.amdhsa_exception_fp_ieee_underflow 0
		.amdhsa_exception_fp_ieee_inexact 0
		.amdhsa_exception_int_div_zero 0
	.end_amdhsa_kernel
	.section	.text._Z12wvSplitK_hf_I14__hip_bfloat16Li64ELi7ELi16ELi8ELi1ELi3EEviiPKT_S3_PS1_ii,"axG",@progbits,_Z12wvSplitK_hf_I14__hip_bfloat16Li64ELi7ELi16ELi8ELi1ELi3EEviiPKT_S3_PS1_ii,comdat
.Lfunc_end27:
	.size	_Z12wvSplitK_hf_I14__hip_bfloat16Li64ELi7ELi16ELi8ELi1ELi3EEviiPKT_S3_PS1_ii, .Lfunc_end27-_Z12wvSplitK_hf_I14__hip_bfloat16Li64ELi7ELi16ELi8ELi1ELi3EEviiPKT_S3_PS1_ii
                                        ; -- End function
	.section	.AMDGPU.csdata,"",@progbits
; Kernel info:
; codeLenInByte = 6628
; NumSgprs: 36
; NumVgprs: 128
; NumAgprs: 0
; TotalNumVgprs: 128
; ScratchSize: 16
; MemoryBound: 1
; FloatMode: 240
; IeeeMode: 1
; LDSByteSize: 65536 bytes/workgroup (compile time only)
; SGPRBlocks: 4
; VGPRBlocks: 15
; NumSGPRsForWavesPerEU: 36
; NumVGPRsForWavesPerEU: 128
; AccumOffset: 128
; Occupancy: 4
; WaveLimiterHint : 0
; COMPUTE_PGM_RSRC2:SCRATCH_EN: 1
; COMPUTE_PGM_RSRC2:USER_SGPR: 2
; COMPUTE_PGM_RSRC2:TRAP_HANDLER: 0
; COMPUTE_PGM_RSRC2:TGID_X_EN: 1
; COMPUTE_PGM_RSRC2:TGID_Y_EN: 0
; COMPUTE_PGM_RSRC2:TGID_Z_EN: 0
; COMPUTE_PGM_RSRC2:TIDIG_COMP_CNT: 1
; COMPUTE_PGM_RSRC3_GFX90A:ACCUM_OFFSET: 31
; COMPUTE_PGM_RSRC3_GFX90A:TG_SPLIT: 0
	.section	.text._Z16wvSplitK_hf_big_I14__hip_bfloat16Li64ELi7ELi16ELi8ELi1ELi3EEviiPKT_S3_PS1_ii,"axG",@progbits,_Z16wvSplitK_hf_big_I14__hip_bfloat16Li64ELi7ELi16ELi8ELi1ELi3EEviiPKT_S3_PS1_ii,comdat
	.protected	_Z16wvSplitK_hf_big_I14__hip_bfloat16Li64ELi7ELi16ELi8ELi1ELi3EEviiPKT_S3_PS1_ii ; -- Begin function _Z16wvSplitK_hf_big_I14__hip_bfloat16Li64ELi7ELi16ELi8ELi1ELi3EEviiPKT_S3_PS1_ii
	.globl	_Z16wvSplitK_hf_big_I14__hip_bfloat16Li64ELi7ELi16ELi8ELi1ELi3EEviiPKT_S3_PS1_ii
	.p2align	8
	.type	_Z16wvSplitK_hf_big_I14__hip_bfloat16Li64ELi7ELi16ELi8ELi1ELi3EEviiPKT_S3_PS1_ii,@function
_Z16wvSplitK_hf_big_I14__hip_bfloat16Li64ELi7ELi16ELi8ELi1ELi3EEviiPKT_S3_PS1_ii: ; @_Z16wvSplitK_hf_big_I14__hip_bfloat16Li64ELi7ELi16ELi8ELi1ELi3EEviiPKT_S3_PS1_ii
; %bb.0:
	s_load_dwordx2 s[4:5], s[0:1], 0x20
	v_bfe_u32 v1, v0, 10, 10
	s_waitcnt lgkmcnt(0)
	v_cmp_gt_u32_e32 vcc, s4, v1
	s_and_saveexec_b64 s[6:7], vcc
	s_cbranch_execz .LBB28_109
; %bb.1:
	s_mul_i32 s33, s4, 7
	s_abs_i32 s6, s33
	v_cvt_f32_u32_e32 v3, s6
	s_load_dwordx2 s[10:11], s[0:1], 0x0
	s_mul_i32 s2, s2, s4
	v_add_u32_e32 v2, s2, v1
	v_mul_lo_u32 v2, v2, 7
	v_rcp_iflag_f32_e32 v3, v3
	v_add_u32_e32 v4, 7, v2
	s_waitcnt lgkmcnt(0)
	v_cmp_le_u32_e32 vcc, s11, v2
	v_cmp_gt_u32_e64 s[2:3], s11, v4
	s_add_i32 s28, s11, -7
	v_mov_b32_e32 v4, s28
	s_or_b64 vcc, vcc, s[2:3]
	v_cndmask_b32_e32 v100, v4, v2, vcc
	v_mul_f32_e32 v2, 0x4f7ffffe, v3
	v_cvt_u32_f32_e32 v2, v2
	s_sub_i32 s7, 0, s6
	s_abs_i32 s3, s11
	s_ashr_i32 s2, s11, 31
	v_readfirstlane_b32 s8, v2
	s_mul_i32 s7, s7, s8
	s_mul_hi_u32 s7, s8, s7
	s_add_i32 s8, s8, s7
	s_mul_hi_u32 s7, s3, s8
	s_mul_i32 s7, s7, s6
	s_sub_i32 s3, s3, s7
	s_sub_i32 s7, s3, s6
	s_cmp_ge_u32 s3, s6
	s_cselect_b32 s3, s7, s3
	s_sub_i32 s7, s3, s6
	s_cmp_ge_u32 s3, s6
	s_cselect_b32 s3, s7, s3
	s_xor_b32 s3, s3, s2
	s_sub_i32 s2, s3, s2
	s_add_i32 s3, s33, s11
	s_sub_i32 s3, s3, s2
	s_cmp_eq_u32 s2, 0
	s_cselect_b32 s29, s11, s3
	v_cmp_gt_u32_e32 vcc, s29, v100
	s_and_b64 exec, exec, vcc
	s_cbranch_execz .LBB28_109
; %bb.2:
	s_mov_b32 s2, 0
	v_cvt_f64_i32_e32 v[2:3], s10
	s_mov_b32 s3, 0x40c50000
	v_min_f64 v[2:3], v[2:3], s[2:3]
	s_load_dwordx4 s[12:15], s[0:1], 0x8
	s_load_dwordx2 s[16:17], s[0:1], 0x18
	s_cmp_lg_u32 s10, 0
	v_and_b32_e32 v0, 0x3ff, v0
	v_cvt_u32_f64_e32 v2, v[2:3]
	v_lshlrev_b32_e32 v104, 3, v0
	s_cselect_b64 s[2:3], -1, 0
	v_cmp_eq_u32_e64 s[0:1], 63, v0
	v_lshlrev_b32_e32 v0, 4, v0
	v_lshl_add_u32 v106, v1, 10, v0
	v_cndmask_b32_e64 v0, 0, 1, s[2:3]
	v_cmp_ne_u32_e32 vcc, 0, v2
	v_readfirstlane_b32 s30, v2
	s_ashr_i32 s19, s10, 31
	s_mov_b32 s18, s10
	v_lshl_add_u32 v108, v1, 9, v104
	v_cmp_ne_u32_e64 s[2:3], 1, v0
	v_cndmask_b32_e64 v0, 0, 1, vcc
	s_lshl_b32 s31, s4, 9
	s_mul_i32 s33, s33, s5
	s_lshl_b64 s[20:21], s[18:19], 1
	v_lshlrev_b32_e32 v105, 2, v2
	s_lshl_b32 s34, s4, 10
	v_lshlrev_b32_e32 v107, 1, v2
	v_lshl_add_u32 v109, s10, 1, v108
	v_add_u32_e32 v110, s10, v108
	s_mov_b64 s[22:23], 0
	v_mov_b32_e32 v103, 0
	s_lshl_b32 s35, s30, 1
	s_mov_b32 s36, 0x7f800000
	s_movk_i32 s37, 0x7fff
	v_cmp_ne_u32_e64 s[4:5], 1, v0
	s_branch .LBB28_6
.LBB28_3:                               ;   in Loop: Header=BB28_6 Depth=1
	s_or_b64 exec, exec, s[24:25]
	v_add_u32_e32 v102, 6, v102
	v_lshl_add_u64 v[2:3], v[102:103], 1, s[16:17]
	global_store_short_d16_hi v[2:3], v1, off
.LBB28_4:                               ;   in Loop: Header=BB28_6 Depth=1
	s_or_b64 exec, exec, s[6:7]
	v_add_u32_e32 v0, s33, v100
	v_add_u32_e32 v1, 7, v0
	v_cmp_le_u32_e32 vcc, s11, v0
	v_cmp_gt_u32_e64 s[6:7], s11, v1
	v_mov_b32_e32 v1, s28
	s_or_b64 vcc, vcc, s[6:7]
	v_cndmask_b32_e32 v100, v1, v0, vcc
.LBB28_5:                               ;   in Loop: Header=BB28_6 Depth=1
	s_or_b64 exec, exec, s[8:9]
	v_cmp_le_u32_e32 vcc, s29, v100
	s_or_b64 s[22:23], vcc, s[22:23]
	s_andn2_b64 exec, exec, s[22:23]
	s_cbranch_execz .LBB28_109
.LBB28_6:                               ; =>This Loop Header: Depth=1
                                        ;     Child Loop BB28_10 Depth 2
                                        ;       Child Loop BB28_15 Depth 3
	s_and_b64 vcc, exec, s[2:3]
	v_mov_b32_e32 v3, v103
	v_mov_b32_e32 v2, v103
	;; [unrolled: 1-line block ×84, first 2 shown]
	s_cbranch_vccnz .LBB28_21
; %bb.7:                                ;   in Loop: Header=BB28_6 Depth=1
	v_mov_b32_e32 v52, 0
	v_cmp_gt_u32_e64 s[6:7], s11, v100
	v_mul_lo_u32 v101, v100, s10
	s_mov_b32 s38, 0
	s_mov_b32 s39, 0
	v_mov_b32_e32 v53, v52
	v_mov_b32_e32 v54, v52
	;; [unrolled: 1-line block ×83, first 2 shown]
	s_branch .LBB28_10
.LBB28_8:                               ;   in Loop: Header=BB28_10 Depth=2
	s_or_b64 exec, exec, s[24:25]
.LBB28_9:                               ;   in Loop: Header=BB28_10 Depth=2
	s_or_b64 exec, exec, s[8:9]
	s_addk_i32 s39, 0x200
	s_cmp_ge_u32 s39, s10
	s_cbranch_scc1 .LBB28_21
.LBB28_10:                              ;   Parent Loop BB28_6 Depth=1
                                        ; =>  This Loop Header: Depth=2
                                        ;       Child Loop BB28_15 Depth 3
	s_cmp_eq_u32 s39, 0
	s_cselect_b64 s[8:9], -1, 0
	s_add_i32 s24, s38, s30
	s_cmp_eq_u32 s39, s24
	s_cselect_b64 s[26:27], -1, 0
	s_or_b64 s[26:27], s[8:9], s[26:27]
	s_andn2_b64 vcc, exec, s[26:27]
	s_cbranch_vccz .LBB28_12
; %bb.11:                               ;   in Loop: Header=BB28_10 Depth=2
	s_and_saveexec_b64 s[8:9], s[6:7]
	s_cbranch_execz .LBB28_9
	s_branch .LBB28_19
.LBB28_12:                              ;   in Loop: Header=BB28_10 Depth=2
	s_and_b64 s[8:9], s[8:9], exec
	s_cselect_b32 s38, s38, s24
	s_and_b64 vcc, exec, s[4:5]
	s_waitcnt lgkmcnt(0)
	s_barrier
	s_cbranch_vccnz .LBB28_18
; %bb.13:                               ;   in Loop: Header=BB28_10 Depth=2
	v_add_u32_e32 v84, s38, v109
	v_add_u32_e32 v85, s38, v110
	;; [unrolled: 1-line block ×3, first 2 shown]
	s_mov_b32 s40, 0
	s_mov_b64 s[24:25], 0
	v_mov_b32_e32 v87, v106
                                        ; implicit-def: $sgpr26_sgpr27
	s_branch .LBB28_15
.LBB28_14:                              ;   in Loop: Header=BB28_15 Depth=3
	s_or_b64 exec, exec, s[8:9]
	s_and_b64 s[8:9], exec, s[26:27]
	s_or_b64 s[24:25], s[8:9], s[24:25]
	s_andn2_b64 exec, exec, s[24:25]
	s_cbranch_execz .LBB28_17
.LBB28_15:                              ;   Parent Loop BB28_6 Depth=1
                                        ;     Parent Loop BB28_10 Depth=2
                                        ; =>    This Inner Loop Header: Depth=3
	v_add_u32_e32 v88, s40, v108
	v_add_u32_e32 v102, s40, v86
	v_cmp_gt_u32_e32 vcc, s10, v102
	v_cmp_gt_u32_e64 s[8:9], s30, v88
	s_and_b64 s[42:43], vcc, s[8:9]
	s_or_b64 s[26:27], s[26:27], exec
	s_and_saveexec_b64 s[8:9], s[42:43]
	s_cbranch_execz .LBB28_14
; %bb.16:                               ;   in Loop: Header=BB28_15 Depth=3
	v_lshl_add_u64 v[88:89], v[102:103], 1, s[14:15]
	v_add_u32_e32 v102, s40, v85
	v_lshl_add_u64 v[92:93], v[102:103], 1, s[14:15]
	v_add_u32_e32 v102, s40, v84
	global_load_dwordx4 v[88:91], v[88:89], off
	s_nop 0
	global_load_dwordx4 v[92:95], v[92:93], off
	v_lshl_add_u64 v[96:97], v[102:103], 1, s[14:15]
	global_load_dwordx4 v[96:99], v[96:97], off
	s_add_i32 s40, s40, s31
	s_cmp_ge_u32 s40, s30
	s_cselect_b64 s[42:43], -1, 0
	s_andn2_b64 s[26:27], s[26:27], exec
	s_and_b64 s[42:43], s[42:43], exec
	v_add_u32_e32 v102, v87, v107
	v_add_u32_e32 v111, v87, v105
	s_or_b64 s[26:27], s[26:27], s[42:43]
	s_waitcnt vmcnt(2)
	ds_write_b128 v87, v[88:91]
	v_add_u32_e32 v87, s34, v87
	s_waitcnt vmcnt(1)
	ds_write2_b64 v102, v[92:93], v[94:95] offset1:1
	s_waitcnt vmcnt(0)
	ds_write2_b32 v111, v96, v97 offset1:1
	ds_write2_b32 v111, v98, v99 offset0:2 offset1:3
	s_branch .LBB28_14
.LBB28_17:                              ;   in Loop: Header=BB28_10 Depth=2
	s_or_b64 exec, exec, s[24:25]
.LBB28_18:                              ;   in Loop: Header=BB28_10 Depth=2
	s_waitcnt lgkmcnt(0)
	s_barrier
	s_and_saveexec_b64 s[8:9], s[6:7]
	s_cbranch_execz .LBB28_9
.LBB28_19:                              ;   in Loop: Header=BB28_10 Depth=2
	v_add_u32_e32 v92, s39, v104
	v_cmp_gt_u32_e32 vcc, s10, v92
	s_and_saveexec_b64 s[24:25], vcc
	s_cbranch_execz .LBB28_8
; %bb.20:                               ;   in Loop: Header=BB28_10 Depth=2
	v_add_u32_e32 v102, v92, v101
	s_waitcnt lgkmcnt(0)
	v_lshl_add_u64 v[84:85], v[102:103], 1, s[12:13]
	global_load_dwordx4 v[88:91], v[84:85], off nt
	v_lshl_add_u64 v[116:117], s[18:19], 1, v[84:85]
	global_load_dwordx4 v[84:87], v[116:117], off nt
	v_subrev_u32_e32 v92, s38, v92
	v_lshlrev_b32_e32 v96, 1, v92
	v_add_u32_e32 v102, s35, v96
	ds_read_b128 v[92:95], v96
	ds_read_b128 v[96:99], v102
	v_add_u32_e32 v102, s35, v102
	ds_read_b128 v[112:115], v102
	s_waitcnt vmcnt(1) lgkmcnt(2)
	v_mfma_f32_4x4x4_16b_bf16 v[80:83], v[92:93], v[88:89], v[80:83]
	s_waitcnt lgkmcnt(1)
	v_mfma_f32_4x4x4_16b_bf16 v[52:55], v[96:97], v[88:89], v[52:55]
	s_waitcnt lgkmcnt(0)
	v_mfma_f32_4x4x4_16b_bf16 v[24:27], v[112:113], v[88:89], v[24:27]
	v_lshl_add_u64 v[88:89], v[116:117], 0, s[20:21]
	s_waitcnt vmcnt(0)
	v_mfma_f32_4x4x4_16b_bf16 v[76:79], v[92:93], v[84:85], v[76:79]
	global_load_dwordx4 v[116:119], v[88:89], off nt
	v_mfma_f32_4x4x4_16b_bf16 v[48:51], v[96:97], v[84:85], v[48:51]
	v_mfma_f32_4x4x4_16b_bf16 v[20:23], v[112:113], v[84:85], v[20:23]
	v_lshl_add_u64 v[84:85], v[88:89], 0, s[20:21]
	global_load_dwordx4 v[120:123], v[84:85], off nt
	v_lshl_add_u64 v[88:89], v[84:85], 0, s[20:21]
	v_mfma_f32_4x4x4_16b_bf16 v[76:79], v[94:95], v[86:87], v[76:79]
	v_mfma_f32_4x4x4_16b_bf16 v[48:51], v[98:99], v[86:87], v[48:51]
	;; [unrolled: 1-line block ×3, first 2 shown]
	global_load_dwordx4 v[84:87], v[88:89], off nt
	v_mfma_f32_4x4x4_16b_bf16 v[80:83], v[94:95], v[90:91], v[80:83]
	v_mfma_f32_4x4x4_16b_bf16 v[52:55], v[98:99], v[90:91], v[52:55]
	;; [unrolled: 1-line block ×3, first 2 shown]
	s_waitcnt vmcnt(2)
	v_mfma_f32_4x4x4_16b_bf16 v[72:75], v[92:93], v[116:117], v[72:75]
	v_mfma_f32_4x4x4_16b_bf16 v[44:47], v[96:97], v[116:117], v[44:47]
	;; [unrolled: 1-line block ×3, first 2 shown]
	v_lshl_add_u64 v[116:117], v[88:89], 0, s[20:21]
	s_waitcnt vmcnt(0)
	v_mfma_f32_4x4x4_16b_bf16 v[64:67], v[92:93], v[84:85], v[64:67]
	global_load_dwordx4 v[88:91], v[116:117], off nt
	v_mfma_f32_4x4x4_16b_bf16 v[36:39], v[96:97], v[84:85], v[36:39]
	v_mfma_f32_4x4x4_16b_bf16 v[8:11], v[112:113], v[84:85], v[8:11]
	v_lshl_add_u64 v[84:85], v[116:117], 0, s[20:21]
	v_mfma_f32_4x4x4_16b_bf16 v[72:75], v[94:95], v[118:119], v[72:75]
	v_mfma_f32_4x4x4_16b_bf16 v[44:47], v[98:99], v[118:119], v[44:47]
	;; [unrolled: 1-line block ×3, first 2 shown]
	global_load_dwordx4 v[116:119], v[84:85], off nt
	v_mfma_f32_4x4x4_16b_bf16 v[68:71], v[92:93], v[120:121], v[68:71]
	v_mfma_f32_4x4x4_16b_bf16 v[40:43], v[96:97], v[120:121], v[40:43]
	;; [unrolled: 1-line block ×9, first 2 shown]
	s_waitcnt vmcnt(1)
	v_mfma_f32_4x4x4_16b_bf16 v[60:63], v[92:93], v[88:89], v[60:63]
	v_mfma_f32_4x4x4_16b_bf16 v[32:35], v[96:97], v[88:89], v[32:35]
	;; [unrolled: 1-line block ×3, first 2 shown]
	s_waitcnt vmcnt(0)
	v_mfma_f32_4x4x4_16b_bf16 v[56:59], v[92:93], v[116:117], v[56:59]
	v_mfma_f32_4x4x4_16b_bf16 v[28:31], v[96:97], v[116:117], v[28:31]
	v_mfma_f32_4x4x4_16b_bf16 v[0:3], v[112:113], v[116:117], v[0:3]
	v_mfma_f32_4x4x4_16b_bf16 v[60:63], v[94:95], v[90:91], v[60:63]
	v_mfma_f32_4x4x4_16b_bf16 v[32:35], v[98:99], v[90:91], v[32:35]
	v_mfma_f32_4x4x4_16b_bf16 v[4:7], v[114:115], v[90:91], v[4:7]
	v_mfma_f32_4x4x4_16b_bf16 v[56:59], v[94:95], v[118:119], v[56:59]
	v_mfma_f32_4x4x4_16b_bf16 v[28:31], v[98:99], v[118:119], v[28:31]
	v_mfma_f32_4x4x4_16b_bf16 v[0:3], v[114:115], v[118:119], v[0:3]
	s_branch .LBB28_8
.LBB28_21:                              ;   in Loop: Header=BB28_6 Depth=1
	v_cmp_le_u32_e32 vcc, s11, v100
	s_and_saveexec_b64 s[6:7], vcc
	s_xor_b64 s[6:7], exec, s[6:7]
; %bb.22:                               ;   in Loop: Header=BB28_6 Depth=1
	v_add_u32_e32 v100, s33, v100
                                        ; implicit-def: $vgpr3
                                        ; implicit-def: $vgpr7
                                        ; implicit-def: $vgpr11
                                        ; implicit-def: $vgpr15
                                        ; implicit-def: $vgpr19
                                        ; implicit-def: $vgpr23
                                        ; implicit-def: $vgpr27
                                        ; implicit-def: $vgpr31
                                        ; implicit-def: $vgpr35
                                        ; implicit-def: $vgpr39
                                        ; implicit-def: $vgpr43
                                        ; implicit-def: $vgpr47
                                        ; implicit-def: $vgpr51
                                        ; implicit-def: $vgpr83
                                        ; implicit-def: $vgpr79
                                        ; implicit-def: $vgpr75
                                        ; implicit-def: $vgpr71
                                        ; implicit-def: $vgpr67
                                        ; implicit-def: $vgpr63
                                        ; implicit-def: $vgpr59
                                        ; implicit-def: $vgpr55
; %bb.23:                               ;   in Loop: Header=BB28_6 Depth=1
	s_andn2_saveexec_b64 s[8:9], s[6:7]
	s_cbranch_execz .LBB28_5
; %bb.24:                               ;   in Loop: Header=BB28_6 Depth=1
	;;#ASMSTART
	s_nop 0
	v_add_f32 v80, v81, v80 row_shl:1 bound_ctrl:0 
	;;#ASMEND
	;;#ASMSTART
	s_nop 0
	v_add_f32 v76, v77, v76 row_shl:1 bound_ctrl:0 
	;;#ASMEND
	;; [unrolled: 4-line block ×21, first 2 shown]
	s_nop 0
	;;#ASMSTART
	s_nop 0
	v_add_f32 v80, v82, v80 row_shl:2 bound_ctrl:0 
	;;#ASMEND
	;;#ASMSTART
	s_nop 0
	v_add_f32 v76, v78, v76 row_shl:2 bound_ctrl:0 
	;;#ASMEND
	;; [unrolled: 4-line block ×21, first 2 shown]
	s_nop 0
	;;#ASMSTART
	s_nop 0
	v_add_f32 v80, v83, v80 row_shl:3 bound_ctrl:0 
	;;#ASMEND
	;;#ASMSTART
	s_nop 0
	v_add_f32 v76, v79, v76 row_shl:3 bound_ctrl:0 
	;;#ASMEND
	;;#ASMSTART
	s_nop 0
	v_add_f32 v72, v75, v72 row_shl:3 bound_ctrl:0 
	;;#ASMEND
	;;#ASMSTART
	s_nop 0
	v_add_f32 v68, v71, v68 row_shl:3 bound_ctrl:0 
	;;#ASMEND
	;;#ASMSTART
	s_nop 0
	v_add_f32 v64, v67, v64 row_shl:3 bound_ctrl:0 
	;;#ASMEND
	;;#ASMSTART
	s_nop 0
	v_add_f32 v60, v63, v60 row_shl:3 bound_ctrl:0 
	;;#ASMEND
	;;#ASMSTART
	s_nop 0
	v_add_f32 v56, v59, v56 row_shl:3 bound_ctrl:0 
	;;#ASMEND
	;;#ASMSTART
	s_nop 0
	v_add_f32 v52, v55, v52 row_shl:3 bound_ctrl:0 
	;;#ASMEND
	;;#ASMSTART
	s_nop 0
	v_add_f32 v48, v51, v48 row_shl:3 bound_ctrl:0 
	;;#ASMEND
	;;#ASMSTART
	s_nop 0
	v_add_f32 v44, v47, v44 row_shl:3 bound_ctrl:0 
	;;#ASMEND
	;;#ASMSTART
	s_nop 0
	v_add_f32 v40, v43, v40 row_shl:3 bound_ctrl:0 
	;;#ASMEND
	;;#ASMSTART
	s_nop 0
	v_add_f32 v36, v39, v36 row_shl:3 bound_ctrl:0 
	;;#ASMEND
	;;#ASMSTART
	s_nop 0
	v_add_f32 v32, v35, v32 row_shl:3 bound_ctrl:0 
	;;#ASMEND
	;;#ASMSTART
	s_nop 0
	v_add_f32 v28, v31, v28 row_shl:3 bound_ctrl:0 
	;;#ASMEND
	;;#ASMSTART
	s_nop 0
	v_add_f32 v24, v27, v24 row_shl:3 bound_ctrl:0 
	;;#ASMEND
	;;#ASMSTART
	s_nop 0
	v_add_f32 v20, v23, v20 row_shl:3 bound_ctrl:0 
	;;#ASMEND
	;;#ASMSTART
	s_nop 0
	v_add_f32 v16, v19, v16 row_shl:3 bound_ctrl:0 
	;;#ASMEND
	;;#ASMSTART
	s_nop 0
	v_add_f32 v12, v15, v12 row_shl:3 bound_ctrl:0 
	;;#ASMEND
	;;#ASMSTART
	s_nop 0
	v_add_f32 v8, v11, v8 row_shl:3 bound_ctrl:0 
	;;#ASMEND
	;;#ASMSTART
	s_nop 0
	v_add_f32 v4, v7, v4 row_shl:3 bound_ctrl:0 
	;;#ASMEND
	;;#ASMSTART
	s_nop 0
	v_add_f32 v0, v3, v0 row_shl:3 bound_ctrl:0 
	;;#ASMEND
	s_nop 0
	;;#ASMSTART
	s_nop 0
	v_add_f32 v80, v80, v80 row_shl:4 bound_ctrl:0 
	;;#ASMEND
	;;#ASMSTART
	s_nop 0
	v_add_f32 v76, v76, v76 row_shl:4 bound_ctrl:0 
	;;#ASMEND
	;; [unrolled: 4-line block ×21, first 2 shown]
	s_nop 0
	;;#ASMSTART
	s_nop 0
	v_add_f32 v80, v80, v80 row_shl:8 bound_ctrl:0 
	;;#ASMEND
	;;#ASMSTART
	s_nop 0
	v_add_f32 v76, v76, v76 row_shl:8 bound_ctrl:0 
	;;#ASMEND
	;; [unrolled: 4-line block ×21, first 2 shown]
	s_nop 0
	;;#ASMSTART
	s_nop 0
	v_mov_b32 v80, v80 row_shr:15 bound_ctrl:0 
	;;#ASMEND
	;;#ASMSTART
	s_nop 0
	v_mov_b32 v76, v76 row_shr:15 bound_ctrl:0 
	;;#ASMEND
	;; [unrolled: 4-line block ×21, first 2 shown]
	s_nop 0
	;;#ASMSTART
	s_nop 0
	v_add_f32 v80, v80, v80 row_bcast:15 bound_ctrl:0
	;;#ASMEND
	;;#ASMSTART
	s_nop 0
	v_add_f32 v76, v76, v76 row_bcast:15 bound_ctrl:0
	;;#ASMEND
	;; [unrolled: 4-line block ×21, first 2 shown]
	s_nop 0
	;;#ASMSTART
	s_nop 0
	v_add_f32 v80, v80, v80 row_bcast:31 bound_ctrl:0
	;;#ASMEND
	;;#ASMSTART
	s_nop 0
	v_add_f32 v76, v76, v76 row_bcast:31 bound_ctrl:0
	;;#ASMEND
	;; [unrolled: 4-line block ×21, first 2 shown]
	s_and_saveexec_b64 s[6:7], s[0:1]
	s_cbranch_execz .LBB28_4
; %bb.25:                               ;   in Loop: Header=BB28_6 Depth=1
	v_and_b32_e32 v1, 0x7f800000, v80
	v_cmp_ne_u32_e32 vcc, s36, v1
                                        ; implicit-def: $vgpr1
	s_and_saveexec_b64 s[24:25], vcc
	s_xor_b64 s[24:25], exec, s[24:25]
; %bb.26:                               ;   in Loop: Header=BB28_6 Depth=1
	v_bfe_u32 v1, v80, 16, 1
	v_add3_u32 v1, v80, v1, s37
                                        ; implicit-def: $vgpr80
; %bb.27:                               ;   in Loop: Header=BB28_6 Depth=1
	s_andn2_saveexec_b64 s[24:25], s[24:25]
; %bb.28:                               ;   in Loop: Header=BB28_6 Depth=1
	v_or_b32_e32 v1, 0x10000, v80
	v_cmp_eq_u32_sdwa vcc, v80, v103 src0_sel:WORD_0 src1_sel:DWORD
	s_nop 1
	v_cndmask_b32_e32 v1, v1, v80, vcc
; %bb.29:                               ;   in Loop: Header=BB28_6 Depth=1
	s_or_b64 exec, exec, s[24:25]
	v_mov_b32_e32 v101, v103
	s_waitcnt lgkmcnt(0)
	v_lshl_add_u64 v[2:3], v[100:101], 1, s[16:17]
	global_store_short_d16_hi v[2:3], v1, off
	v_and_b32_e32 v1, 0x7f800000, v76
	v_cmp_ne_u32_e32 vcc, s36, v1
                                        ; implicit-def: $vgpr1
	s_and_saveexec_b64 s[24:25], vcc
	s_xor_b64 s[24:25], exec, s[24:25]
; %bb.30:                               ;   in Loop: Header=BB28_6 Depth=1
	v_bfe_u32 v1, v76, 16, 1
	v_add3_u32 v1, v76, v1, s37
                                        ; implicit-def: $vgpr76
; %bb.31:                               ;   in Loop: Header=BB28_6 Depth=1
	s_andn2_saveexec_b64 s[24:25], s[24:25]
; %bb.32:                               ;   in Loop: Header=BB28_6 Depth=1
	v_or_b32_e32 v1, 0x10000, v76
	v_cmp_eq_u32_sdwa vcc, v76, v103 src0_sel:WORD_0 src1_sel:DWORD
	s_nop 1
	v_cndmask_b32_e32 v1, v1, v76, vcc
; %bb.33:                               ;   in Loop: Header=BB28_6 Depth=1
	s_or_b64 exec, exec, s[24:25]
	global_store_short_d16_hi v[2:3], v1, off offset:2
	v_and_b32_e32 v1, 0x7f800000, v72
	v_cmp_ne_u32_e32 vcc, s36, v1
                                        ; implicit-def: $vgpr1
	s_and_saveexec_b64 s[24:25], vcc
	s_xor_b64 s[24:25], exec, s[24:25]
; %bb.34:                               ;   in Loop: Header=BB28_6 Depth=1
	v_bfe_u32 v1, v72, 16, 1
	v_add3_u32 v1, v72, v1, s37
                                        ; implicit-def: $vgpr72
; %bb.35:                               ;   in Loop: Header=BB28_6 Depth=1
	s_andn2_saveexec_b64 s[24:25], s[24:25]
; %bb.36:                               ;   in Loop: Header=BB28_6 Depth=1
	v_or_b32_e32 v1, 0x10000, v72
	v_cmp_eq_u32_sdwa vcc, v72, v103 src0_sel:WORD_0 src1_sel:DWORD
	s_nop 1
	v_cndmask_b32_e32 v1, v1, v72, vcc
; %bb.37:                               ;   in Loop: Header=BB28_6 Depth=1
	s_or_b64 exec, exec, s[24:25]
	v_add_u32_e32 v102, 2, v100
	v_lshl_add_u64 v[2:3], v[102:103], 1, s[16:17]
	global_store_short_d16_hi v[2:3], v1, off
	v_and_b32_e32 v1, 0x7f800000, v68
	v_cmp_ne_u32_e32 vcc, s36, v1
                                        ; implicit-def: $vgpr1
	s_and_saveexec_b64 s[24:25], vcc
	s_xor_b64 s[24:25], exec, s[24:25]
; %bb.38:                               ;   in Loop: Header=BB28_6 Depth=1
	v_bfe_u32 v1, v68, 16, 1
	v_add3_u32 v1, v68, v1, s37
                                        ; implicit-def: $vgpr68
; %bb.39:                               ;   in Loop: Header=BB28_6 Depth=1
	s_andn2_saveexec_b64 s[24:25], s[24:25]
; %bb.40:                               ;   in Loop: Header=BB28_6 Depth=1
	v_or_b32_e32 v1, 0x10000, v68
	v_cmp_eq_u32_sdwa vcc, v68, v103 src0_sel:WORD_0 src1_sel:DWORD
	s_nop 1
	v_cndmask_b32_e32 v1, v1, v68, vcc
; %bb.41:                               ;   in Loop: Header=BB28_6 Depth=1
	s_or_b64 exec, exec, s[24:25]
	v_add_u32_e32 v102, 3, v100
	v_lshl_add_u64 v[2:3], v[102:103], 1, s[16:17]
	global_store_short_d16_hi v[2:3], v1, off
	v_and_b32_e32 v1, 0x7f800000, v64
	v_cmp_ne_u32_e32 vcc, s36, v1
                                        ; implicit-def: $vgpr1
	s_and_saveexec_b64 s[24:25], vcc
	s_xor_b64 s[24:25], exec, s[24:25]
; %bb.42:                               ;   in Loop: Header=BB28_6 Depth=1
	v_bfe_u32 v1, v64, 16, 1
	v_add3_u32 v1, v64, v1, s37
                                        ; implicit-def: $vgpr64
; %bb.43:                               ;   in Loop: Header=BB28_6 Depth=1
	s_andn2_saveexec_b64 s[24:25], s[24:25]
; %bb.44:                               ;   in Loop: Header=BB28_6 Depth=1
	v_or_b32_e32 v1, 0x10000, v64
	v_cmp_eq_u32_sdwa vcc, v64, v103 src0_sel:WORD_0 src1_sel:DWORD
	s_nop 1
	v_cndmask_b32_e32 v1, v1, v64, vcc
; %bb.45:                               ;   in Loop: Header=BB28_6 Depth=1
	s_or_b64 exec, exec, s[24:25]
	v_add_u32_e32 v102, 4, v100
	v_lshl_add_u64 v[2:3], v[102:103], 1, s[16:17]
	global_store_short_d16_hi v[2:3], v1, off
	v_and_b32_e32 v1, 0x7f800000, v60
	v_cmp_ne_u32_e32 vcc, s36, v1
                                        ; implicit-def: $vgpr1
	s_and_saveexec_b64 s[24:25], vcc
	s_xor_b64 s[24:25], exec, s[24:25]
; %bb.46:                               ;   in Loop: Header=BB28_6 Depth=1
	v_bfe_u32 v1, v60, 16, 1
	v_add3_u32 v1, v60, v1, s37
                                        ; implicit-def: $vgpr60
; %bb.47:                               ;   in Loop: Header=BB28_6 Depth=1
	s_andn2_saveexec_b64 s[24:25], s[24:25]
; %bb.48:                               ;   in Loop: Header=BB28_6 Depth=1
	v_or_b32_e32 v1, 0x10000, v60
	v_cmp_eq_u32_sdwa vcc, v60, v103 src0_sel:WORD_0 src1_sel:DWORD
	s_nop 1
	v_cndmask_b32_e32 v1, v1, v60, vcc
; %bb.49:                               ;   in Loop: Header=BB28_6 Depth=1
	s_or_b64 exec, exec, s[24:25]
	v_add_u32_e32 v102, 5, v100
	v_lshl_add_u64 v[2:3], v[102:103], 1, s[16:17]
	global_store_short_d16_hi v[2:3], v1, off
	v_and_b32_e32 v1, 0x7f800000, v56
	v_cmp_ne_u32_e32 vcc, s36, v1
                                        ; implicit-def: $vgpr1
	s_and_saveexec_b64 s[24:25], vcc
	s_xor_b64 s[24:25], exec, s[24:25]
; %bb.50:                               ;   in Loop: Header=BB28_6 Depth=1
	v_bfe_u32 v1, v56, 16, 1
	v_add3_u32 v1, v56, v1, s37
                                        ; implicit-def: $vgpr56
; %bb.51:                               ;   in Loop: Header=BB28_6 Depth=1
	s_andn2_saveexec_b64 s[24:25], s[24:25]
; %bb.52:                               ;   in Loop: Header=BB28_6 Depth=1
	v_or_b32_e32 v1, 0x10000, v56
	v_cmp_eq_u32_sdwa vcc, v56, v103 src0_sel:WORD_0 src1_sel:DWORD
	s_nop 1
	v_cndmask_b32_e32 v1, v1, v56, vcc
; %bb.53:                               ;   in Loop: Header=BB28_6 Depth=1
	s_or_b64 exec, exec, s[24:25]
	v_add_u32_e32 v102, 6, v100
	v_lshl_add_u64 v[2:3], v[102:103], 1, s[16:17]
	global_store_short_d16_hi v[2:3], v1, off
	v_and_b32_e32 v1, 0x7f800000, v52
	v_cmp_ne_u32_e32 vcc, s36, v1
                                        ; implicit-def: $vgpr1
	s_and_saveexec_b64 s[24:25], vcc
	s_xor_b64 s[24:25], exec, s[24:25]
; %bb.54:                               ;   in Loop: Header=BB28_6 Depth=1
	v_bfe_u32 v1, v52, 16, 1
	v_add3_u32 v1, v52, v1, s37
                                        ; implicit-def: $vgpr52
; %bb.55:                               ;   in Loop: Header=BB28_6 Depth=1
	s_andn2_saveexec_b64 s[24:25], s[24:25]
; %bb.56:                               ;   in Loop: Header=BB28_6 Depth=1
	v_or_b32_e32 v1, 0x10000, v52
	v_cmp_eq_u32_sdwa vcc, v52, v103 src0_sel:WORD_0 src1_sel:DWORD
	s_nop 1
	v_cndmask_b32_e32 v1, v1, v52, vcc
; %bb.57:                               ;   in Loop: Header=BB28_6 Depth=1
	s_or_b64 exec, exec, s[24:25]
	v_add_u32_e32 v102, s11, v100
	v_lshl_add_u64 v[2:3], v[102:103], 1, s[16:17]
	global_store_short_d16_hi v[2:3], v1, off
	v_and_b32_e32 v1, 0x7f800000, v48
	v_cmp_ne_u32_e32 vcc, s36, v1
                                        ; implicit-def: $vgpr1
	s_and_saveexec_b64 s[24:25], vcc
	s_xor_b64 s[24:25], exec, s[24:25]
; %bb.58:                               ;   in Loop: Header=BB28_6 Depth=1
	v_bfe_u32 v1, v48, 16, 1
	v_add3_u32 v1, v48, v1, s37
                                        ; implicit-def: $vgpr48
; %bb.59:                               ;   in Loop: Header=BB28_6 Depth=1
	s_andn2_saveexec_b64 s[24:25], s[24:25]
; %bb.60:                               ;   in Loop: Header=BB28_6 Depth=1
	v_or_b32_e32 v1, 0x10000, v48
	v_cmp_eq_u32_sdwa vcc, v48, v103 src0_sel:WORD_0 src1_sel:DWORD
	s_nop 1
	v_cndmask_b32_e32 v1, v1, v48, vcc
; %bb.61:                               ;   in Loop: Header=BB28_6 Depth=1
	s_or_b64 exec, exec, s[24:25]
	v_add_u32_e32 v2, 1, v102
	v_mov_b32_e32 v3, v103
	v_lshl_add_u64 v[2:3], v[2:3], 1, s[16:17]
	global_store_short_d16_hi v[2:3], v1, off
	v_and_b32_e32 v1, 0x7f800000, v44
	v_cmp_ne_u32_e32 vcc, s36, v1
                                        ; implicit-def: $vgpr1
	s_and_saveexec_b64 s[24:25], vcc
	s_xor_b64 s[24:25], exec, s[24:25]
; %bb.62:                               ;   in Loop: Header=BB28_6 Depth=1
	v_bfe_u32 v1, v44, 16, 1
	v_add3_u32 v1, v44, v1, s37
                                        ; implicit-def: $vgpr44
; %bb.63:                               ;   in Loop: Header=BB28_6 Depth=1
	s_andn2_saveexec_b64 s[24:25], s[24:25]
; %bb.64:                               ;   in Loop: Header=BB28_6 Depth=1
	v_or_b32_e32 v1, 0x10000, v44
	v_cmp_eq_u32_sdwa vcc, v44, v103 src0_sel:WORD_0 src1_sel:DWORD
	s_nop 1
	v_cndmask_b32_e32 v1, v1, v44, vcc
; %bb.65:                               ;   in Loop: Header=BB28_6 Depth=1
	s_or_b64 exec, exec, s[24:25]
	v_add_u32_e32 v2, 2, v102
	v_mov_b32_e32 v3, v103
	v_lshl_add_u64 v[2:3], v[2:3], 1, s[16:17]
	global_store_short_d16_hi v[2:3], v1, off
	v_and_b32_e32 v1, 0x7f800000, v40
	v_cmp_ne_u32_e32 vcc, s36, v1
                                        ; implicit-def: $vgpr1
	s_and_saveexec_b64 s[24:25], vcc
	s_xor_b64 s[24:25], exec, s[24:25]
; %bb.66:                               ;   in Loop: Header=BB28_6 Depth=1
	v_bfe_u32 v1, v40, 16, 1
	v_add3_u32 v1, v40, v1, s37
                                        ; implicit-def: $vgpr40
; %bb.67:                               ;   in Loop: Header=BB28_6 Depth=1
	s_andn2_saveexec_b64 s[24:25], s[24:25]
; %bb.68:                               ;   in Loop: Header=BB28_6 Depth=1
	v_or_b32_e32 v1, 0x10000, v40
	v_cmp_eq_u32_sdwa vcc, v40, v103 src0_sel:WORD_0 src1_sel:DWORD
	s_nop 1
	v_cndmask_b32_e32 v1, v1, v40, vcc
; %bb.69:                               ;   in Loop: Header=BB28_6 Depth=1
	s_or_b64 exec, exec, s[24:25]
	v_add_u32_e32 v2, 3, v102
	v_mov_b32_e32 v3, v103
	v_lshl_add_u64 v[2:3], v[2:3], 1, s[16:17]
	global_store_short_d16_hi v[2:3], v1, off
	v_and_b32_e32 v1, 0x7f800000, v36
	v_cmp_ne_u32_e32 vcc, s36, v1
                                        ; implicit-def: $vgpr1
	s_and_saveexec_b64 s[24:25], vcc
	s_xor_b64 s[24:25], exec, s[24:25]
; %bb.70:                               ;   in Loop: Header=BB28_6 Depth=1
	v_bfe_u32 v1, v36, 16, 1
	v_add3_u32 v1, v36, v1, s37
                                        ; implicit-def: $vgpr36
; %bb.71:                               ;   in Loop: Header=BB28_6 Depth=1
	s_andn2_saveexec_b64 s[24:25], s[24:25]
; %bb.72:                               ;   in Loop: Header=BB28_6 Depth=1
	v_or_b32_e32 v1, 0x10000, v36
	v_cmp_eq_u32_sdwa vcc, v36, v103 src0_sel:WORD_0 src1_sel:DWORD
	s_nop 1
	v_cndmask_b32_e32 v1, v1, v36, vcc
; %bb.73:                               ;   in Loop: Header=BB28_6 Depth=1
	s_or_b64 exec, exec, s[24:25]
	v_add_u32_e32 v2, 4, v102
	v_mov_b32_e32 v3, v103
	v_lshl_add_u64 v[2:3], v[2:3], 1, s[16:17]
	global_store_short_d16_hi v[2:3], v1, off
	v_and_b32_e32 v1, 0x7f800000, v32
	v_cmp_ne_u32_e32 vcc, s36, v1
                                        ; implicit-def: $vgpr1
	s_and_saveexec_b64 s[24:25], vcc
	s_xor_b64 s[24:25], exec, s[24:25]
; %bb.74:                               ;   in Loop: Header=BB28_6 Depth=1
	v_bfe_u32 v1, v32, 16, 1
	v_add3_u32 v1, v32, v1, s37
                                        ; implicit-def: $vgpr32
; %bb.75:                               ;   in Loop: Header=BB28_6 Depth=1
	s_andn2_saveexec_b64 s[24:25], s[24:25]
; %bb.76:                               ;   in Loop: Header=BB28_6 Depth=1
	v_or_b32_e32 v1, 0x10000, v32
	v_cmp_eq_u32_sdwa vcc, v32, v103 src0_sel:WORD_0 src1_sel:DWORD
	s_nop 1
	v_cndmask_b32_e32 v1, v1, v32, vcc
; %bb.77:                               ;   in Loop: Header=BB28_6 Depth=1
	s_or_b64 exec, exec, s[24:25]
	v_add_u32_e32 v2, 5, v102
	v_mov_b32_e32 v3, v103
	v_lshl_add_u64 v[2:3], v[2:3], 1, s[16:17]
	global_store_short_d16_hi v[2:3], v1, off
	v_and_b32_e32 v1, 0x7f800000, v28
	v_cmp_ne_u32_e32 vcc, s36, v1
                                        ; implicit-def: $vgpr1
	s_and_saveexec_b64 s[24:25], vcc
	s_xor_b64 s[24:25], exec, s[24:25]
; %bb.78:                               ;   in Loop: Header=BB28_6 Depth=1
	v_bfe_u32 v1, v28, 16, 1
	v_add3_u32 v1, v28, v1, s37
                                        ; implicit-def: $vgpr28
; %bb.79:                               ;   in Loop: Header=BB28_6 Depth=1
	s_andn2_saveexec_b64 s[24:25], s[24:25]
; %bb.80:                               ;   in Loop: Header=BB28_6 Depth=1
	v_or_b32_e32 v1, 0x10000, v28
	v_cmp_eq_u32_sdwa vcc, v28, v103 src0_sel:WORD_0 src1_sel:DWORD
	s_nop 1
	v_cndmask_b32_e32 v1, v1, v28, vcc
; %bb.81:                               ;   in Loop: Header=BB28_6 Depth=1
	s_or_b64 exec, exec, s[24:25]
	v_add_u32_e32 v2, 6, v102
	v_mov_b32_e32 v3, v103
	v_lshl_add_u64 v[2:3], v[2:3], 1, s[16:17]
	global_store_short_d16_hi v[2:3], v1, off
	v_and_b32_e32 v1, 0x7f800000, v24
	v_cmp_ne_u32_e32 vcc, s36, v1
                                        ; implicit-def: $vgpr1
	s_and_saveexec_b64 s[24:25], vcc
	s_xor_b64 s[24:25], exec, s[24:25]
; %bb.82:                               ;   in Loop: Header=BB28_6 Depth=1
	v_bfe_u32 v1, v24, 16, 1
	v_add3_u32 v1, v24, v1, s37
                                        ; implicit-def: $vgpr24
; %bb.83:                               ;   in Loop: Header=BB28_6 Depth=1
	s_andn2_saveexec_b64 s[24:25], s[24:25]
; %bb.84:                               ;   in Loop: Header=BB28_6 Depth=1
	v_or_b32_e32 v1, 0x10000, v24
	v_cmp_eq_u32_sdwa vcc, v24, v103 src0_sel:WORD_0 src1_sel:DWORD
	s_nop 1
	v_cndmask_b32_e32 v1, v1, v24, vcc
; %bb.85:                               ;   in Loop: Header=BB28_6 Depth=1
	s_or_b64 exec, exec, s[24:25]
	v_add_u32_e32 v102, s11, v102
	v_lshl_add_u64 v[2:3], v[102:103], 1, s[16:17]
	global_store_short_d16_hi v[2:3], v1, off
	v_and_b32_e32 v1, 0x7f800000, v20
	v_cmp_ne_u32_e32 vcc, s36, v1
                                        ; implicit-def: $vgpr1
	s_and_saveexec_b64 s[24:25], vcc
	s_xor_b64 s[24:25], exec, s[24:25]
; %bb.86:                               ;   in Loop: Header=BB28_6 Depth=1
	v_bfe_u32 v1, v20, 16, 1
	v_add3_u32 v1, v20, v1, s37
                                        ; implicit-def: $vgpr20
; %bb.87:                               ;   in Loop: Header=BB28_6 Depth=1
	s_andn2_saveexec_b64 s[24:25], s[24:25]
; %bb.88:                               ;   in Loop: Header=BB28_6 Depth=1
	v_or_b32_e32 v1, 0x10000, v20
	v_cmp_eq_u32_sdwa vcc, v20, v103 src0_sel:WORD_0 src1_sel:DWORD
	s_nop 1
	v_cndmask_b32_e32 v1, v1, v20, vcc
; %bb.89:                               ;   in Loop: Header=BB28_6 Depth=1
	s_or_b64 exec, exec, s[24:25]
	v_add_u32_e32 v2, 1, v102
	v_mov_b32_e32 v3, v103
	v_lshl_add_u64 v[2:3], v[2:3], 1, s[16:17]
	global_store_short_d16_hi v[2:3], v1, off
	v_and_b32_e32 v1, 0x7f800000, v16
	v_cmp_ne_u32_e32 vcc, s36, v1
                                        ; implicit-def: $vgpr1
	s_and_saveexec_b64 s[24:25], vcc
	s_xor_b64 s[24:25], exec, s[24:25]
; %bb.90:                               ;   in Loop: Header=BB28_6 Depth=1
	v_bfe_u32 v1, v16, 16, 1
	v_add3_u32 v1, v16, v1, s37
                                        ; implicit-def: $vgpr16
; %bb.91:                               ;   in Loop: Header=BB28_6 Depth=1
	s_andn2_saveexec_b64 s[24:25], s[24:25]
; %bb.92:                               ;   in Loop: Header=BB28_6 Depth=1
	v_or_b32_e32 v1, 0x10000, v16
	v_cmp_eq_u32_sdwa vcc, v16, v103 src0_sel:WORD_0 src1_sel:DWORD
	s_nop 1
	v_cndmask_b32_e32 v1, v1, v16, vcc
; %bb.93:                               ;   in Loop: Header=BB28_6 Depth=1
	s_or_b64 exec, exec, s[24:25]
	v_add_u32_e32 v2, 2, v102
	v_mov_b32_e32 v3, v103
	v_lshl_add_u64 v[2:3], v[2:3], 1, s[16:17]
	global_store_short_d16_hi v[2:3], v1, off
	v_and_b32_e32 v1, 0x7f800000, v12
	v_cmp_ne_u32_e32 vcc, s36, v1
                                        ; implicit-def: $vgpr1
	s_and_saveexec_b64 s[24:25], vcc
	s_xor_b64 s[24:25], exec, s[24:25]
; %bb.94:                               ;   in Loop: Header=BB28_6 Depth=1
	v_bfe_u32 v1, v12, 16, 1
	v_add3_u32 v1, v12, v1, s37
                                        ; implicit-def: $vgpr12
; %bb.95:                               ;   in Loop: Header=BB28_6 Depth=1
	s_andn2_saveexec_b64 s[24:25], s[24:25]
; %bb.96:                               ;   in Loop: Header=BB28_6 Depth=1
	v_or_b32_e32 v1, 0x10000, v12
	v_cmp_eq_u32_sdwa vcc, v12, v103 src0_sel:WORD_0 src1_sel:DWORD
	s_nop 1
	v_cndmask_b32_e32 v1, v1, v12, vcc
; %bb.97:                               ;   in Loop: Header=BB28_6 Depth=1
	s_or_b64 exec, exec, s[24:25]
	v_add_u32_e32 v2, 3, v102
	v_mov_b32_e32 v3, v103
	v_lshl_add_u64 v[2:3], v[2:3], 1, s[16:17]
	global_store_short_d16_hi v[2:3], v1, off
	v_and_b32_e32 v1, 0x7f800000, v8
	v_cmp_ne_u32_e32 vcc, s36, v1
                                        ; implicit-def: $vgpr1
	s_and_saveexec_b64 s[24:25], vcc
	s_xor_b64 s[24:25], exec, s[24:25]
; %bb.98:                               ;   in Loop: Header=BB28_6 Depth=1
	v_bfe_u32 v1, v8, 16, 1
	v_add3_u32 v1, v8, v1, s37
                                        ; implicit-def: $vgpr8
; %bb.99:                               ;   in Loop: Header=BB28_6 Depth=1
	s_andn2_saveexec_b64 s[24:25], s[24:25]
; %bb.100:                              ;   in Loop: Header=BB28_6 Depth=1
	v_or_b32_e32 v1, 0x10000, v8
	v_cmp_eq_u32_sdwa vcc, v8, v103 src0_sel:WORD_0 src1_sel:DWORD
	s_nop 1
	v_cndmask_b32_e32 v1, v1, v8, vcc
; %bb.101:                              ;   in Loop: Header=BB28_6 Depth=1
	s_or_b64 exec, exec, s[24:25]
	v_add_u32_e32 v2, 4, v102
	v_mov_b32_e32 v3, v103
	v_lshl_add_u64 v[2:3], v[2:3], 1, s[16:17]
	global_store_short_d16_hi v[2:3], v1, off
	v_and_b32_e32 v1, 0x7f800000, v4
	v_cmp_ne_u32_e32 vcc, s36, v1
                                        ; implicit-def: $vgpr1
	s_and_saveexec_b64 s[24:25], vcc
	s_xor_b64 s[24:25], exec, s[24:25]
; %bb.102:                              ;   in Loop: Header=BB28_6 Depth=1
	v_bfe_u32 v1, v4, 16, 1
	v_add3_u32 v1, v4, v1, s37
                                        ; implicit-def: $vgpr4
; %bb.103:                              ;   in Loop: Header=BB28_6 Depth=1
	s_andn2_saveexec_b64 s[24:25], s[24:25]
; %bb.104:                              ;   in Loop: Header=BB28_6 Depth=1
	v_or_b32_e32 v1, 0x10000, v4
	v_cmp_eq_u32_sdwa vcc, v4, v103 src0_sel:WORD_0 src1_sel:DWORD
	s_nop 1
	v_cndmask_b32_e32 v1, v1, v4, vcc
; %bb.105:                              ;   in Loop: Header=BB28_6 Depth=1
	s_or_b64 exec, exec, s[24:25]
	v_add_u32_e32 v2, 5, v102
	v_mov_b32_e32 v3, v103
	v_lshl_add_u64 v[2:3], v[2:3], 1, s[16:17]
	global_store_short_d16_hi v[2:3], v1, off
	v_and_b32_e32 v1, 0x7f800000, v0
	v_cmp_ne_u32_e32 vcc, s36, v1
                                        ; implicit-def: $vgpr1
	s_and_saveexec_b64 s[24:25], vcc
	s_xor_b64 s[24:25], exec, s[24:25]
; %bb.106:                              ;   in Loop: Header=BB28_6 Depth=1
	v_bfe_u32 v1, v0, 16, 1
	v_add3_u32 v1, v0, v1, s37
                                        ; implicit-def: $vgpr0
; %bb.107:                              ;   in Loop: Header=BB28_6 Depth=1
	s_andn2_saveexec_b64 s[24:25], s[24:25]
	s_cbranch_execz .LBB28_3
; %bb.108:                              ;   in Loop: Header=BB28_6 Depth=1
	v_or_b32_e32 v1, 0x10000, v0
	v_cmp_eq_u32_sdwa vcc, v0, v103 src0_sel:WORD_0 src1_sel:DWORD
	s_nop 1
	v_cndmask_b32_e32 v1, v1, v0, vcc
	s_branch .LBB28_3
.LBB28_109:
	s_endpgm
	.section	.rodata,"a",@progbits
	.p2align	6, 0x0
	.amdhsa_kernel _Z16wvSplitK_hf_big_I14__hip_bfloat16Li64ELi7ELi16ELi8ELi1ELi3EEviiPKT_S3_PS1_ii
		.amdhsa_group_segment_fixed_size 65536
		.amdhsa_private_segment_fixed_size 0
		.amdhsa_kernarg_size 40
		.amdhsa_user_sgpr_count 2
		.amdhsa_user_sgpr_dispatch_ptr 0
		.amdhsa_user_sgpr_queue_ptr 0
		.amdhsa_user_sgpr_kernarg_segment_ptr 1
		.amdhsa_user_sgpr_dispatch_id 0
		.amdhsa_user_sgpr_kernarg_preload_length 0
		.amdhsa_user_sgpr_kernarg_preload_offset 0
		.amdhsa_user_sgpr_private_segment_size 0
		.amdhsa_uses_dynamic_stack 0
		.amdhsa_enable_private_segment 0
		.amdhsa_system_sgpr_workgroup_id_x 1
		.amdhsa_system_sgpr_workgroup_id_y 0
		.amdhsa_system_sgpr_workgroup_id_z 0
		.amdhsa_system_sgpr_workgroup_info 0
		.amdhsa_system_vgpr_workitem_id 1
		.amdhsa_next_free_vgpr 124
		.amdhsa_next_free_sgpr 44
		.amdhsa_accum_offset 124
		.amdhsa_reserve_vcc 1
		.amdhsa_float_round_mode_32 0
		.amdhsa_float_round_mode_16_64 0
		.amdhsa_float_denorm_mode_32 3
		.amdhsa_float_denorm_mode_16_64 3
		.amdhsa_dx10_clamp 1
		.amdhsa_ieee_mode 1
		.amdhsa_fp16_overflow 0
		.amdhsa_tg_split 0
		.amdhsa_exception_fp_ieee_invalid_op 0
		.amdhsa_exception_fp_denorm_src 0
		.amdhsa_exception_fp_ieee_div_zero 0
		.amdhsa_exception_fp_ieee_overflow 0
		.amdhsa_exception_fp_ieee_underflow 0
		.amdhsa_exception_fp_ieee_inexact 0
		.amdhsa_exception_int_div_zero 0
	.end_amdhsa_kernel
	.section	.text._Z16wvSplitK_hf_big_I14__hip_bfloat16Li64ELi7ELi16ELi8ELi1ELi3EEviiPKT_S3_PS1_ii,"axG",@progbits,_Z16wvSplitK_hf_big_I14__hip_bfloat16Li64ELi7ELi16ELi8ELi1ELi3EEviiPKT_S3_PS1_ii,comdat
.Lfunc_end28:
	.size	_Z16wvSplitK_hf_big_I14__hip_bfloat16Li64ELi7ELi16ELi8ELi1ELi3EEviiPKT_S3_PS1_ii, .Lfunc_end28-_Z16wvSplitK_hf_big_I14__hip_bfloat16Li64ELi7ELi16ELi8ELi1ELi3EEviiPKT_S3_PS1_ii
                                        ; -- End function
	.section	.AMDGPU.csdata,"",@progbits
; Kernel info:
; codeLenInByte = 6716
; NumSgprs: 50
; NumVgprs: 124
; NumAgprs: 0
; TotalNumVgprs: 124
; ScratchSize: 0
; MemoryBound: 0
; FloatMode: 240
; IeeeMode: 1
; LDSByteSize: 65536 bytes/workgroup (compile time only)
; SGPRBlocks: 6
; VGPRBlocks: 15
; NumSGPRsForWavesPerEU: 50
; NumVGPRsForWavesPerEU: 124
; AccumOffset: 124
; Occupancy: 4
; WaveLimiterHint : 0
; COMPUTE_PGM_RSRC2:SCRATCH_EN: 0
; COMPUTE_PGM_RSRC2:USER_SGPR: 2
; COMPUTE_PGM_RSRC2:TRAP_HANDLER: 0
; COMPUTE_PGM_RSRC2:TGID_X_EN: 1
; COMPUTE_PGM_RSRC2:TGID_Y_EN: 0
; COMPUTE_PGM_RSRC2:TGID_Z_EN: 0
; COMPUTE_PGM_RSRC2:TIDIG_COMP_CNT: 1
; COMPUTE_PGM_RSRC3_GFX90A:ACCUM_OFFSET: 30
; COMPUTE_PGM_RSRC3_GFX90A:TG_SPLIT: 0
	.section	.text._Z16wvSplitK_hf_sml_I14__hip_bfloat16Li64ELi4ELi16ELi8ELi1ELi4EEviiPKT_S3_PS1_ii,"axG",@progbits,_Z16wvSplitK_hf_sml_I14__hip_bfloat16Li64ELi4ELi16ELi8ELi1ELi4EEviiPKT_S3_PS1_ii,comdat
	.protected	_Z16wvSplitK_hf_sml_I14__hip_bfloat16Li64ELi4ELi16ELi8ELi1ELi4EEviiPKT_S3_PS1_ii ; -- Begin function _Z16wvSplitK_hf_sml_I14__hip_bfloat16Li64ELi4ELi16ELi8ELi1ELi4EEviiPKT_S3_PS1_ii
	.globl	_Z16wvSplitK_hf_sml_I14__hip_bfloat16Li64ELi4ELi16ELi8ELi1ELi4EEviiPKT_S3_PS1_ii
	.p2align	8
	.type	_Z16wvSplitK_hf_sml_I14__hip_bfloat16Li64ELi4ELi16ELi8ELi1ELi4EEviiPKT_S3_PS1_ii,@function
_Z16wvSplitK_hf_sml_I14__hip_bfloat16Li64ELi4ELi16ELi8ELi1ELi4EEviiPKT_S3_PS1_ii: ; @_Z16wvSplitK_hf_sml_I14__hip_bfloat16Li64ELi4ELi16ELi8ELi1ELi4EEviiPKT_S3_PS1_ii
; %bb.0:
	s_load_dwordx2 s[4:5], s[0:1], 0x0
	v_and_b32_e32 v2, 0x3ff, v0
	v_bfe_u32 v3, v0, 10, 10
	v_lshlrev_b32_e32 v68, 3, v2
	s_mov_b32 s3, 0
	s_waitcnt lgkmcnt(0)
	s_lshl_b32 s20, s4, 2
	s_cmp_lg_u32 s4, 0
	s_cselect_b64 s[16:17], -1, 0
	s_cmp_eq_u32 s4, 0
	s_cbranch_scc1 .LBB29_6
; %bb.1:
	s_load_dwordx2 s[6:7], s[0:1], 0x10
	v_lshlrev_b32_e32 v0, 4, v2
	s_min_i32 s14, s20, 0x8000
	v_lshl_add_u32 v4, v3, 10, v0
	v_lshl_add_u32 v5, v3, 9, v68
	s_mov_b64 s[8:9], 0
	v_mov_b32_e32 v1, 0
                                        ; implicit-def: $sgpr10_sgpr11
	s_branch .LBB29_3
.LBB29_2:                               ;   in Loop: Header=BB29_3 Depth=1
	s_or_b64 exec, exec, s[12:13]
	s_and_b64 s[12:13], exec, s[10:11]
	s_or_b64 s[8:9], s[12:13], s[8:9]
	s_andn2_b64 exec, exec, s[8:9]
	s_cbranch_execz .LBB29_5
.LBB29_3:                               ; =>This Inner Loop Header: Depth=1
	v_add_u32_e32 v0, s3, v5
	v_cmp_gt_u32_e32 vcc, s14, v0
	s_or_b64 s[10:11], s[10:11], exec
	s_and_saveexec_b64 s[12:13], vcc
	s_cbranch_execz .LBB29_2
; %bb.4:                                ;   in Loop: Header=BB29_3 Depth=1
	s_waitcnt lgkmcnt(0)
	v_lshl_add_u64 v[6:7], v[0:1], 1, s[6:7]
	global_load_dwordx4 v[6:9], v[6:7], off
	s_addk_i32 s3, 0x2000
	s_cmp_ge_u32 s3, s14
	s_cselect_b64 s[18:19], -1, 0
	s_andn2_b64 s[10:11], s[10:11], exec
	s_and_b64 s[18:19], s[18:19], exec
	s_or_b64 s[10:11], s[10:11], s[18:19]
	s_waitcnt vmcnt(0)
	ds_write_b128 v4, v[6:9]
	v_add_u32_e32 v4, 0x4000, v4
	s_branch .LBB29_2
.LBB29_5:
	s_or_b64 exec, exec, s[8:9]
.LBB29_6:
	s_load_dwordx2 s[10:11], s[0:1], 0x20
	s_waitcnt lgkmcnt(0)
	s_barrier
	v_cmp_gt_u32_e32 vcc, s10, v3
	s_and_saveexec_b64 s[6:7], vcc
	s_cbranch_execz .LBB29_81
; %bb.7:
	s_mul_i32 s2, s2, s10
	v_add_u32_e32 v0, s2, v3
	v_lshlrev_b32_e32 v64, 2, v0
	v_cmp_gt_u32_e32 vcc, s5, v64
	s_and_b64 exec, exec, vcc
	s_cbranch_execz .LBB29_81
; %bb.8:
	s_load_dwordx2 s[6:7], s[0:1], 0x8
	s_load_dwordx2 s[8:9], s[0:1], 0x18
	s_mul_i32 s2, s10, s11
	v_mul_lo_u32 v0, s4, v0
	s_lshl_b32 s21, s2, 2
	s_ashr_i32 s11, s4, 31
	s_mov_b32 s10, s4
	v_lshl_add_u32 v70, v0, 2, v68
	s_mul_i32 s2, s2, s4
	v_cndmask_b32_e64 v0, 0, 1, s[16:17]
	v_cmp_eq_u32_e64 s[0:1], 63, v2
	s_lshl_b64 s[12:13], s[10:11], 1
	s_mul_i32 s22, s4, 6
	v_lshlrev_b32_e32 v69, 4, v2
	s_lshl_b32 s23, s4, 1
	s_lshl_b32 s24, s2, 2
	s_mov_b64 s[14:15], 0
	v_cmp_ne_u32_e64 s[2:3], 1, v0
	v_mov_b32_e32 v67, 0
	s_mov_b32 s25, 0x7f800000
	s_movk_i32 s26, 0x7fff
	s_branch .LBB29_11
.LBB29_9:                               ;   in Loop: Header=BB29_11 Depth=1
	s_or_b64 exec, exec, s[18:19]
	v_add_u32_e32 v66, 3, v66
	v_lshl_add_u64 v[2:3], v[66:67], 1, s[8:9]
	global_store_short_d16_hi v[2:3], v1, off
.LBB29_10:                              ;   in Loop: Header=BB29_11 Depth=1
	s_or_b64 exec, exec, s[16:17]
	v_add_u32_e32 v64, s21, v64
	v_cmp_le_u32_e32 vcc, s5, v64
	s_or_b64 s[14:15], vcc, s[14:15]
	v_add_u32_e32 v70, s24, v70
	s_andn2_b64 exec, exec, s[14:15]
	s_cbranch_execz .LBB29_81
.LBB29_11:                              ; =>This Loop Header: Depth=1
                                        ;     Child Loop BB29_14 Depth 2
	s_and_b64 vcc, exec, s[2:3]
	v_mov_b32_e32 v3, v67
	v_mov_b32_e32 v2, v67
	;; [unrolled: 1-line block ×64, first 2 shown]
	s_cbranch_vccnz .LBB29_16
; %bb.12:                               ;   in Loop: Header=BB29_11 Depth=1
	v_mov_b32_e32 v48, 0
	s_mov_b32 s18, 0
	v_mov_b32_e32 v65, v69
	v_mov_b32_e32 v49, v48
	;; [unrolled: 1-line block ×64, first 2 shown]
	s_branch .LBB29_14
.LBB29_13:                              ;   in Loop: Header=BB29_14 Depth=2
	s_or_b64 exec, exec, s[16:17]
	s_addk_i32 s18, 0x200
	s_cmp_ge_u32 s18, s4
	v_add_u32_e32 v65, 0x400, v65
	s_cbranch_scc1 .LBB29_16
.LBB29_14:                              ;   Parent Loop BB29_11 Depth=1
                                        ; =>  This Inner Loop Header: Depth=2
	v_add_u32_e32 v66, s18, v68
	v_cmp_gt_u32_e32 vcc, s4, v66
	s_and_saveexec_b64 s[16:17], vcc
	s_cbranch_execz .LBB29_13
; %bb.15:                               ;   in Loop: Header=BB29_14 Depth=2
	v_add_u32_e32 v66, s18, v70
	s_waitcnt lgkmcnt(0)
	v_lshl_add_u64 v[76:77], v[66:67], 1, s[6:7]
	global_load_dwordx4 v[72:75], v[76:77], off nt
	v_add_u32_e32 v66, s23, v65
	ds_read_b128 v[80:83], v65
	ds_read_b128 v[84:87], v66
	v_add_u32_e32 v71, s20, v65
	v_add_u32_e32 v66, s22, v65
	ds_read2_b32 v[100:101], v71 offset1:1
	ds_read_b128 v[88:91], v66
	v_lshl_add_u64 v[92:93], s[10:11], 1, v[76:77]
	global_load_dwordx4 v[76:79], v[92:93], off nt
	s_waitcnt vmcnt(1) lgkmcnt(3)
	v_mfma_f32_4x4x4_16b_bf16 v[60:63], v[80:81], v[72:73], v[60:63]
	s_waitcnt lgkmcnt(2)
	v_mfma_f32_4x4x4_16b_bf16 v[44:47], v[84:85], v[72:73], v[44:47]
	s_waitcnt lgkmcnt(1)
	;; [unrolled: 2-line block ×3, first 2 shown]
	v_mfma_f32_4x4x4_16b_bf16 v[12:15], v[88:89], v[72:73], v[12:15]
	v_lshl_add_u64 v[72:73], v[92:93], 0, s[12:13]
	global_load_dwordx4 v[92:95], v[72:73], off nt
	v_lshl_add_u64 v[72:73], v[72:73], 0, s[12:13]
	global_load_dwordx4 v[96:99], v[72:73], off nt
	ds_read2_b32 v[72:73], v71 offset0:2 offset1:3
	s_waitcnt vmcnt(2)
	v_mfma_f32_4x4x4_16b_bf16 v[56:59], v[80:81], v[76:77], v[56:59]
	v_mfma_f32_4x4x4_16b_bf16 v[40:43], v[84:85], v[76:77], v[40:43]
	;; [unrolled: 1-line block ×6, first 2 shown]
	s_waitcnt lgkmcnt(0)
	v_mfma_f32_4x4x4_16b_bf16 v[28:31], v[72:73], v[74:75], v[28:31]
	v_mfma_f32_4x4x4_16b_bf16 v[12:15], v[90:91], v[74:75], v[12:15]
	;; [unrolled: 1-line block ×6, first 2 shown]
	s_waitcnt vmcnt(1)
	v_mfma_f32_4x4x4_16b_bf16 v[52:55], v[80:81], v[92:93], v[52:55]
	v_mfma_f32_4x4x4_16b_bf16 v[36:39], v[84:85], v[92:93], v[36:39]
	;; [unrolled: 1-line block ×4, first 2 shown]
	s_waitcnt vmcnt(0)
	v_mfma_f32_4x4x4_16b_bf16 v[48:51], v[80:81], v[96:97], v[48:51]
	v_mfma_f32_4x4x4_16b_bf16 v[32:35], v[84:85], v[96:97], v[32:35]
	;; [unrolled: 1-line block ×12, first 2 shown]
	s_branch .LBB29_13
.LBB29_16:                              ;   in Loop: Header=BB29_11 Depth=1
	;;#ASMSTART
	s_nop 0
	v_add_f32 v60, v61, v60 row_shl:1 bound_ctrl:0 
	;;#ASMEND
	;;#ASMSTART
	s_nop 0
	v_add_f32 v56, v57, v56 row_shl:1 bound_ctrl:0 
	;;#ASMEND
	;; [unrolled: 4-line block ×16, first 2 shown]
	s_nop 0
	;;#ASMSTART
	s_nop 0
	v_add_f32 v60, v62, v60 row_shl:2 bound_ctrl:0 
	;;#ASMEND
	;;#ASMSTART
	s_nop 0
	v_add_f32 v56, v58, v56 row_shl:2 bound_ctrl:0 
	;;#ASMEND
	;; [unrolled: 4-line block ×16, first 2 shown]
	s_nop 0
	;;#ASMSTART
	s_nop 0
	v_add_f32 v60, v63, v60 row_shl:3 bound_ctrl:0 
	;;#ASMEND
	;;#ASMSTART
	s_nop 0
	v_add_f32 v56, v59, v56 row_shl:3 bound_ctrl:0 
	;;#ASMEND
	;; [unrolled: 4-line block ×16, first 2 shown]
	s_nop 0
	;;#ASMSTART
	s_nop 0
	v_add_f32 v60, v60, v60 row_shl:4 bound_ctrl:0 
	;;#ASMEND
	;;#ASMSTART
	s_nop 0
	v_add_f32 v56, v56, v56 row_shl:4 bound_ctrl:0 
	;;#ASMEND
	;;#ASMSTART
	s_nop 0
	v_add_f32 v52, v52, v52 row_shl:4 bound_ctrl:0 
	;;#ASMEND
	;;#ASMSTART
	s_nop 0
	v_add_f32 v48, v48, v48 row_shl:4 bound_ctrl:0 
	;;#ASMEND
	;;#ASMSTART
	s_nop 0
	v_add_f32 v44, v44, v44 row_shl:4 bound_ctrl:0 
	;;#ASMEND
	;;#ASMSTART
	s_nop 0
	v_add_f32 v40, v40, v40 row_shl:4 bound_ctrl:0 
	;;#ASMEND
	;;#ASMSTART
	s_nop 0
	v_add_f32 v36, v36, v36 row_shl:4 bound_ctrl:0 
	;;#ASMEND
	;;#ASMSTART
	s_nop 0
	v_add_f32 v32, v32, v32 row_shl:4 bound_ctrl:0 
	;;#ASMEND
	;;#ASMSTART
	s_nop 0
	v_add_f32 v28, v28, v28 row_shl:4 bound_ctrl:0 
	;;#ASMEND
	;;#ASMSTART
	s_nop 0
	v_add_f32 v24, v24, v24 row_shl:4 bound_ctrl:0 
	;;#ASMEND
	;;#ASMSTART
	s_nop 0
	v_add_f32 v20, v20, v20 row_shl:4 bound_ctrl:0 
	;;#ASMEND
	;;#ASMSTART
	s_nop 0
	v_add_f32 v16, v16, v16 row_shl:4 bound_ctrl:0 
	;;#ASMEND
	;;#ASMSTART
	s_nop 0
	v_add_f32 v12, v12, v12 row_shl:4 bound_ctrl:0 
	;;#ASMEND
	;;#ASMSTART
	s_nop 0
	v_add_f32 v8, v8, v8 row_shl:4 bound_ctrl:0 
	;;#ASMEND
	;;#ASMSTART
	s_nop 0
	v_add_f32 v4, v4, v4 row_shl:4 bound_ctrl:0 
	;;#ASMEND
	;;#ASMSTART
	s_nop 0
	v_add_f32 v0, v0, v0 row_shl:4 bound_ctrl:0 
	;;#ASMEND
	s_nop 0
	;;#ASMSTART
	s_nop 0
	v_add_f32 v60, v60, v60 row_shl:8 bound_ctrl:0 
	;;#ASMEND
	;;#ASMSTART
	s_nop 0
	v_add_f32 v56, v56, v56 row_shl:8 bound_ctrl:0 
	;;#ASMEND
	;; [unrolled: 4-line block ×16, first 2 shown]
	s_nop 0
	;;#ASMSTART
	s_nop 0
	v_mov_b32 v60, v60 row_shr:15 bound_ctrl:0 
	;;#ASMEND
	;;#ASMSTART
	s_nop 0
	v_mov_b32 v56, v56 row_shr:15 bound_ctrl:0 
	;;#ASMEND
	;; [unrolled: 4-line block ×16, first 2 shown]
	s_nop 0
	;;#ASMSTART
	s_nop 0
	v_add_f32 v60, v60, v60 row_bcast:15 bound_ctrl:0
	;;#ASMEND
	;;#ASMSTART
	s_nop 0
	v_add_f32 v56, v56, v56 row_bcast:15 bound_ctrl:0
	;;#ASMEND
	;; [unrolled: 4-line block ×16, first 2 shown]
	s_nop 0
	;;#ASMSTART
	s_nop 0
	v_add_f32 v60, v60, v60 row_bcast:31 bound_ctrl:0
	;;#ASMEND
	;;#ASMSTART
	s_nop 0
	v_add_f32 v56, v56, v56 row_bcast:31 bound_ctrl:0
	;;#ASMEND
	;; [unrolled: 4-line block ×16, first 2 shown]
	s_and_saveexec_b64 s[16:17], s[0:1]
	s_cbranch_execz .LBB29_10
; %bb.17:                               ;   in Loop: Header=BB29_11 Depth=1
	v_and_b32_e32 v1, 0x7f800000, v60
	v_cmp_ne_u32_e32 vcc, s25, v1
                                        ; implicit-def: $vgpr1
	s_and_saveexec_b64 s[18:19], vcc
	s_xor_b64 s[18:19], exec, s[18:19]
; %bb.18:                               ;   in Loop: Header=BB29_11 Depth=1
	v_bfe_u32 v1, v60, 16, 1
	v_add3_u32 v1, v60, v1, s26
                                        ; implicit-def: $vgpr60
; %bb.19:                               ;   in Loop: Header=BB29_11 Depth=1
	s_andn2_saveexec_b64 s[18:19], s[18:19]
; %bb.20:                               ;   in Loop: Header=BB29_11 Depth=1
	v_or_b32_e32 v1, 0x10000, v60
	v_cmp_eq_u32_sdwa vcc, v60, v67 src0_sel:WORD_0 src1_sel:DWORD
	s_nop 1
	v_cndmask_b32_e32 v1, v1, v60, vcc
; %bb.21:                               ;   in Loop: Header=BB29_11 Depth=1
	s_or_b64 exec, exec, s[18:19]
	v_mov_b32_e32 v65, v67
	s_waitcnt lgkmcnt(0)
	v_lshl_add_u64 v[2:3], v[64:65], 1, s[8:9]
	global_store_short_d16_hi v[2:3], v1, off
	v_and_b32_e32 v1, 0x7f800000, v56
	v_cmp_ne_u32_e32 vcc, s25, v1
                                        ; implicit-def: $vgpr1
	s_and_saveexec_b64 s[18:19], vcc
	s_xor_b64 s[18:19], exec, s[18:19]
; %bb.22:                               ;   in Loop: Header=BB29_11 Depth=1
	v_bfe_u32 v1, v56, 16, 1
	v_add3_u32 v1, v56, v1, s26
                                        ; implicit-def: $vgpr56
; %bb.23:                               ;   in Loop: Header=BB29_11 Depth=1
	s_andn2_saveexec_b64 s[18:19], s[18:19]
; %bb.24:                               ;   in Loop: Header=BB29_11 Depth=1
	v_or_b32_e32 v1, 0x10000, v56
	v_cmp_eq_u32_sdwa vcc, v56, v67 src0_sel:WORD_0 src1_sel:DWORD
	s_nop 1
	v_cndmask_b32_e32 v1, v1, v56, vcc
; %bb.25:                               ;   in Loop: Header=BB29_11 Depth=1
	s_or_b64 exec, exec, s[18:19]
	global_store_short_d16_hi v[2:3], v1, off offset:2
	v_and_b32_e32 v1, 0x7f800000, v52
	v_cmp_ne_u32_e32 vcc, s25, v1
                                        ; implicit-def: $vgpr1
	s_and_saveexec_b64 s[18:19], vcc
	s_xor_b64 s[18:19], exec, s[18:19]
; %bb.26:                               ;   in Loop: Header=BB29_11 Depth=1
	v_bfe_u32 v1, v52, 16, 1
	v_add3_u32 v1, v52, v1, s26
                                        ; implicit-def: $vgpr52
; %bb.27:                               ;   in Loop: Header=BB29_11 Depth=1
	s_andn2_saveexec_b64 s[18:19], s[18:19]
; %bb.28:                               ;   in Loop: Header=BB29_11 Depth=1
	v_or_b32_e32 v1, 0x10000, v52
	v_cmp_eq_u32_sdwa vcc, v52, v67 src0_sel:WORD_0 src1_sel:DWORD
	s_nop 1
	v_cndmask_b32_e32 v1, v1, v52, vcc
; %bb.29:                               ;   in Loop: Header=BB29_11 Depth=1
	s_or_b64 exec, exec, s[18:19]
	global_store_short_d16_hi v[2:3], v1, off offset:4
	v_and_b32_e32 v1, 0x7f800000, v48
	v_cmp_ne_u32_e32 vcc, s25, v1
                                        ; implicit-def: $vgpr1
	s_and_saveexec_b64 s[18:19], vcc
	s_xor_b64 s[18:19], exec, s[18:19]
; %bb.30:                               ;   in Loop: Header=BB29_11 Depth=1
	v_bfe_u32 v1, v48, 16, 1
	v_add3_u32 v1, v48, v1, s26
                                        ; implicit-def: $vgpr48
; %bb.31:                               ;   in Loop: Header=BB29_11 Depth=1
	s_andn2_saveexec_b64 s[18:19], s[18:19]
; %bb.32:                               ;   in Loop: Header=BB29_11 Depth=1
	v_or_b32_e32 v1, 0x10000, v48
	v_cmp_eq_u32_sdwa vcc, v48, v67 src0_sel:WORD_0 src1_sel:DWORD
	s_nop 1
	v_cndmask_b32_e32 v1, v1, v48, vcc
; %bb.33:                               ;   in Loop: Header=BB29_11 Depth=1
	s_or_b64 exec, exec, s[18:19]
	global_store_short_d16_hi v[2:3], v1, off offset:6
	v_and_b32_e32 v1, 0x7f800000, v44
	v_cmp_ne_u32_e32 vcc, s25, v1
                                        ; implicit-def: $vgpr1
	s_and_saveexec_b64 s[18:19], vcc
	s_xor_b64 s[18:19], exec, s[18:19]
; %bb.34:                               ;   in Loop: Header=BB29_11 Depth=1
	v_bfe_u32 v1, v44, 16, 1
	v_add3_u32 v1, v44, v1, s26
                                        ; implicit-def: $vgpr44
; %bb.35:                               ;   in Loop: Header=BB29_11 Depth=1
	s_andn2_saveexec_b64 s[18:19], s[18:19]
; %bb.36:                               ;   in Loop: Header=BB29_11 Depth=1
	v_or_b32_e32 v1, 0x10000, v44
	v_cmp_eq_u32_sdwa vcc, v44, v67 src0_sel:WORD_0 src1_sel:DWORD
	s_nop 1
	v_cndmask_b32_e32 v1, v1, v44, vcc
; %bb.37:                               ;   in Loop: Header=BB29_11 Depth=1
	s_or_b64 exec, exec, s[18:19]
	v_add_u32_e32 v66, s5, v64
	v_lshl_add_u64 v[2:3], v[66:67], 1, s[8:9]
	global_store_short_d16_hi v[2:3], v1, off
	v_and_b32_e32 v1, 0x7f800000, v40
	v_cmp_ne_u32_e32 vcc, s25, v1
                                        ; implicit-def: $vgpr1
	s_and_saveexec_b64 s[18:19], vcc
	s_xor_b64 s[18:19], exec, s[18:19]
; %bb.38:                               ;   in Loop: Header=BB29_11 Depth=1
	v_bfe_u32 v1, v40, 16, 1
	v_add3_u32 v1, v40, v1, s26
                                        ; implicit-def: $vgpr40
; %bb.39:                               ;   in Loop: Header=BB29_11 Depth=1
	s_andn2_saveexec_b64 s[18:19], s[18:19]
; %bb.40:                               ;   in Loop: Header=BB29_11 Depth=1
	v_or_b32_e32 v1, 0x10000, v40
	v_cmp_eq_u32_sdwa vcc, v40, v67 src0_sel:WORD_0 src1_sel:DWORD
	s_nop 1
	v_cndmask_b32_e32 v1, v1, v40, vcc
; %bb.41:                               ;   in Loop: Header=BB29_11 Depth=1
	s_or_b64 exec, exec, s[18:19]
	v_add_u32_e32 v2, 1, v66
	v_mov_b32_e32 v3, v67
	v_lshl_add_u64 v[2:3], v[2:3], 1, s[8:9]
	global_store_short_d16_hi v[2:3], v1, off
	v_and_b32_e32 v1, 0x7f800000, v36
	v_cmp_ne_u32_e32 vcc, s25, v1
                                        ; implicit-def: $vgpr1
	s_and_saveexec_b64 s[18:19], vcc
	s_xor_b64 s[18:19], exec, s[18:19]
; %bb.42:                               ;   in Loop: Header=BB29_11 Depth=1
	v_bfe_u32 v1, v36, 16, 1
	v_add3_u32 v1, v36, v1, s26
                                        ; implicit-def: $vgpr36
; %bb.43:                               ;   in Loop: Header=BB29_11 Depth=1
	s_andn2_saveexec_b64 s[18:19], s[18:19]
; %bb.44:                               ;   in Loop: Header=BB29_11 Depth=1
	v_or_b32_e32 v1, 0x10000, v36
	v_cmp_eq_u32_sdwa vcc, v36, v67 src0_sel:WORD_0 src1_sel:DWORD
	s_nop 1
	v_cndmask_b32_e32 v1, v1, v36, vcc
; %bb.45:                               ;   in Loop: Header=BB29_11 Depth=1
	s_or_b64 exec, exec, s[18:19]
	v_add_u32_e32 v2, 2, v66
	v_mov_b32_e32 v3, v67
	v_lshl_add_u64 v[2:3], v[2:3], 1, s[8:9]
	global_store_short_d16_hi v[2:3], v1, off
	v_and_b32_e32 v1, 0x7f800000, v32
	v_cmp_ne_u32_e32 vcc, s25, v1
                                        ; implicit-def: $vgpr1
	s_and_saveexec_b64 s[18:19], vcc
	s_xor_b64 s[18:19], exec, s[18:19]
; %bb.46:                               ;   in Loop: Header=BB29_11 Depth=1
	v_bfe_u32 v1, v32, 16, 1
	v_add3_u32 v1, v32, v1, s26
                                        ; implicit-def: $vgpr32
; %bb.47:                               ;   in Loop: Header=BB29_11 Depth=1
	s_andn2_saveexec_b64 s[18:19], s[18:19]
; %bb.48:                               ;   in Loop: Header=BB29_11 Depth=1
	v_or_b32_e32 v1, 0x10000, v32
	v_cmp_eq_u32_sdwa vcc, v32, v67 src0_sel:WORD_0 src1_sel:DWORD
	s_nop 1
	v_cndmask_b32_e32 v1, v1, v32, vcc
; %bb.49:                               ;   in Loop: Header=BB29_11 Depth=1
	s_or_b64 exec, exec, s[18:19]
	v_add_u32_e32 v2, 3, v66
	v_mov_b32_e32 v3, v67
	v_lshl_add_u64 v[2:3], v[2:3], 1, s[8:9]
	global_store_short_d16_hi v[2:3], v1, off
	v_and_b32_e32 v1, 0x7f800000, v28
	v_cmp_ne_u32_e32 vcc, s25, v1
                                        ; implicit-def: $vgpr1
	s_and_saveexec_b64 s[18:19], vcc
	s_xor_b64 s[18:19], exec, s[18:19]
; %bb.50:                               ;   in Loop: Header=BB29_11 Depth=1
	v_bfe_u32 v1, v28, 16, 1
	v_add3_u32 v1, v28, v1, s26
                                        ; implicit-def: $vgpr28
; %bb.51:                               ;   in Loop: Header=BB29_11 Depth=1
	s_andn2_saveexec_b64 s[18:19], s[18:19]
; %bb.52:                               ;   in Loop: Header=BB29_11 Depth=1
	v_or_b32_e32 v1, 0x10000, v28
	v_cmp_eq_u32_sdwa vcc, v28, v67 src0_sel:WORD_0 src1_sel:DWORD
	s_nop 1
	v_cndmask_b32_e32 v1, v1, v28, vcc
; %bb.53:                               ;   in Loop: Header=BB29_11 Depth=1
	s_or_b64 exec, exec, s[18:19]
	v_add_u32_e32 v66, s5, v66
	v_lshl_add_u64 v[2:3], v[66:67], 1, s[8:9]
	global_store_short_d16_hi v[2:3], v1, off
	v_and_b32_e32 v1, 0x7f800000, v24
	v_cmp_ne_u32_e32 vcc, s25, v1
                                        ; implicit-def: $vgpr1
	s_and_saveexec_b64 s[18:19], vcc
	s_xor_b64 s[18:19], exec, s[18:19]
; %bb.54:                               ;   in Loop: Header=BB29_11 Depth=1
	v_bfe_u32 v1, v24, 16, 1
	v_add3_u32 v1, v24, v1, s26
                                        ; implicit-def: $vgpr24
; %bb.55:                               ;   in Loop: Header=BB29_11 Depth=1
	s_andn2_saveexec_b64 s[18:19], s[18:19]
; %bb.56:                               ;   in Loop: Header=BB29_11 Depth=1
	v_or_b32_e32 v1, 0x10000, v24
	v_cmp_eq_u32_sdwa vcc, v24, v67 src0_sel:WORD_0 src1_sel:DWORD
	s_nop 1
	v_cndmask_b32_e32 v1, v1, v24, vcc
; %bb.57:                               ;   in Loop: Header=BB29_11 Depth=1
	s_or_b64 exec, exec, s[18:19]
	global_store_short_d16_hi v[2:3], v1, off offset:2
	v_and_b32_e32 v1, 0x7f800000, v20
	v_cmp_ne_u32_e32 vcc, s25, v1
                                        ; implicit-def: $vgpr1
	s_and_saveexec_b64 s[18:19], vcc
	s_xor_b64 s[18:19], exec, s[18:19]
; %bb.58:                               ;   in Loop: Header=BB29_11 Depth=1
	v_bfe_u32 v1, v20, 16, 1
	v_add3_u32 v1, v20, v1, s26
                                        ; implicit-def: $vgpr20
; %bb.59:                               ;   in Loop: Header=BB29_11 Depth=1
	s_andn2_saveexec_b64 s[18:19], s[18:19]
; %bb.60:                               ;   in Loop: Header=BB29_11 Depth=1
	v_or_b32_e32 v1, 0x10000, v20
	v_cmp_eq_u32_sdwa vcc, v20, v67 src0_sel:WORD_0 src1_sel:DWORD
	s_nop 1
	v_cndmask_b32_e32 v1, v1, v20, vcc
; %bb.61:                               ;   in Loop: Header=BB29_11 Depth=1
	s_or_b64 exec, exec, s[18:19]
	v_add_u32_e32 v2, 2, v66
	v_mov_b32_e32 v3, v67
	v_lshl_add_u64 v[2:3], v[2:3], 1, s[8:9]
	global_store_short_d16_hi v[2:3], v1, off
	v_and_b32_e32 v1, 0x7f800000, v16
	v_cmp_ne_u32_e32 vcc, s25, v1
                                        ; implicit-def: $vgpr1
	s_and_saveexec_b64 s[18:19], vcc
	s_xor_b64 s[18:19], exec, s[18:19]
; %bb.62:                               ;   in Loop: Header=BB29_11 Depth=1
	v_bfe_u32 v1, v16, 16, 1
	v_add3_u32 v1, v16, v1, s26
                                        ; implicit-def: $vgpr16
; %bb.63:                               ;   in Loop: Header=BB29_11 Depth=1
	s_andn2_saveexec_b64 s[18:19], s[18:19]
; %bb.64:                               ;   in Loop: Header=BB29_11 Depth=1
	v_or_b32_e32 v1, 0x10000, v16
	v_cmp_eq_u32_sdwa vcc, v16, v67 src0_sel:WORD_0 src1_sel:DWORD
	s_nop 1
	v_cndmask_b32_e32 v1, v1, v16, vcc
; %bb.65:                               ;   in Loop: Header=BB29_11 Depth=1
	s_or_b64 exec, exec, s[18:19]
	v_add_u32_e32 v2, 3, v66
	v_mov_b32_e32 v3, v67
	v_lshl_add_u64 v[2:3], v[2:3], 1, s[8:9]
	global_store_short_d16_hi v[2:3], v1, off
	v_and_b32_e32 v1, 0x7f800000, v12
	v_cmp_ne_u32_e32 vcc, s25, v1
                                        ; implicit-def: $vgpr1
	s_and_saveexec_b64 s[18:19], vcc
	s_xor_b64 s[18:19], exec, s[18:19]
; %bb.66:                               ;   in Loop: Header=BB29_11 Depth=1
	v_bfe_u32 v1, v12, 16, 1
	v_add3_u32 v1, v12, v1, s26
                                        ; implicit-def: $vgpr12
; %bb.67:                               ;   in Loop: Header=BB29_11 Depth=1
	s_andn2_saveexec_b64 s[18:19], s[18:19]
; %bb.68:                               ;   in Loop: Header=BB29_11 Depth=1
	v_or_b32_e32 v1, 0x10000, v12
	v_cmp_eq_u32_sdwa vcc, v12, v67 src0_sel:WORD_0 src1_sel:DWORD
	s_nop 1
	v_cndmask_b32_e32 v1, v1, v12, vcc
; %bb.69:                               ;   in Loop: Header=BB29_11 Depth=1
	s_or_b64 exec, exec, s[18:19]
	v_add_u32_e32 v66, s5, v66
	v_lshl_add_u64 v[2:3], v[66:67], 1, s[8:9]
	global_store_short_d16_hi v[2:3], v1, off
	v_and_b32_e32 v1, 0x7f800000, v8
	v_cmp_ne_u32_e32 vcc, s25, v1
                                        ; implicit-def: $vgpr1
	s_and_saveexec_b64 s[18:19], vcc
	s_xor_b64 s[18:19], exec, s[18:19]
; %bb.70:                               ;   in Loop: Header=BB29_11 Depth=1
	v_bfe_u32 v1, v8, 16, 1
	v_add3_u32 v1, v8, v1, s26
                                        ; implicit-def: $vgpr8
; %bb.71:                               ;   in Loop: Header=BB29_11 Depth=1
	s_andn2_saveexec_b64 s[18:19], s[18:19]
; %bb.72:                               ;   in Loop: Header=BB29_11 Depth=1
	v_or_b32_e32 v1, 0x10000, v8
	v_cmp_eq_u32_sdwa vcc, v8, v67 src0_sel:WORD_0 src1_sel:DWORD
	s_nop 1
	v_cndmask_b32_e32 v1, v1, v8, vcc
; %bb.73:                               ;   in Loop: Header=BB29_11 Depth=1
	s_or_b64 exec, exec, s[18:19]
	v_add_u32_e32 v2, 1, v66
	v_mov_b32_e32 v3, v67
	v_lshl_add_u64 v[2:3], v[2:3], 1, s[8:9]
	global_store_short_d16_hi v[2:3], v1, off
	v_and_b32_e32 v1, 0x7f800000, v4
	v_cmp_ne_u32_e32 vcc, s25, v1
                                        ; implicit-def: $vgpr1
	s_and_saveexec_b64 s[18:19], vcc
	s_xor_b64 s[18:19], exec, s[18:19]
; %bb.74:                               ;   in Loop: Header=BB29_11 Depth=1
	v_bfe_u32 v1, v4, 16, 1
	v_add3_u32 v1, v4, v1, s26
                                        ; implicit-def: $vgpr4
; %bb.75:                               ;   in Loop: Header=BB29_11 Depth=1
	s_andn2_saveexec_b64 s[18:19], s[18:19]
; %bb.76:                               ;   in Loop: Header=BB29_11 Depth=1
	v_or_b32_e32 v1, 0x10000, v4
	v_cmp_eq_u32_sdwa vcc, v4, v67 src0_sel:WORD_0 src1_sel:DWORD
	s_nop 1
	v_cndmask_b32_e32 v1, v1, v4, vcc
; %bb.77:                               ;   in Loop: Header=BB29_11 Depth=1
	s_or_b64 exec, exec, s[18:19]
	v_add_u32_e32 v2, 2, v66
	v_mov_b32_e32 v3, v67
	v_lshl_add_u64 v[2:3], v[2:3], 1, s[8:9]
	global_store_short_d16_hi v[2:3], v1, off
	v_and_b32_e32 v1, 0x7f800000, v0
	v_cmp_ne_u32_e32 vcc, s25, v1
                                        ; implicit-def: $vgpr1
	s_and_saveexec_b64 s[18:19], vcc
	s_xor_b64 s[18:19], exec, s[18:19]
; %bb.78:                               ;   in Loop: Header=BB29_11 Depth=1
	v_bfe_u32 v1, v0, 16, 1
	v_add3_u32 v1, v0, v1, s26
                                        ; implicit-def: $vgpr0
; %bb.79:                               ;   in Loop: Header=BB29_11 Depth=1
	s_andn2_saveexec_b64 s[18:19], s[18:19]
	s_cbranch_execz .LBB29_9
; %bb.80:                               ;   in Loop: Header=BB29_11 Depth=1
	v_or_b32_e32 v1, 0x10000, v0
	v_cmp_eq_u32_sdwa vcc, v0, v67 src0_sel:WORD_0 src1_sel:DWORD
	s_nop 1
	v_cndmask_b32_e32 v1, v1, v0, vcc
	s_branch .LBB29_9
.LBB29_81:
	s_endpgm
	.section	.rodata,"a",@progbits
	.p2align	6, 0x0
	.amdhsa_kernel _Z16wvSplitK_hf_sml_I14__hip_bfloat16Li64ELi4ELi16ELi8ELi1ELi4EEviiPKT_S3_PS1_ii
		.amdhsa_group_segment_fixed_size 65536
		.amdhsa_private_segment_fixed_size 0
		.amdhsa_kernarg_size 40
		.amdhsa_user_sgpr_count 2
		.amdhsa_user_sgpr_dispatch_ptr 0
		.amdhsa_user_sgpr_queue_ptr 0
		.amdhsa_user_sgpr_kernarg_segment_ptr 1
		.amdhsa_user_sgpr_dispatch_id 0
		.amdhsa_user_sgpr_kernarg_preload_length 0
		.amdhsa_user_sgpr_kernarg_preload_offset 0
		.amdhsa_user_sgpr_private_segment_size 0
		.amdhsa_uses_dynamic_stack 0
		.amdhsa_enable_private_segment 0
		.amdhsa_system_sgpr_workgroup_id_x 1
		.amdhsa_system_sgpr_workgroup_id_y 0
		.amdhsa_system_sgpr_workgroup_id_z 0
		.amdhsa_system_sgpr_workgroup_info 0
		.amdhsa_system_vgpr_workitem_id 1
		.amdhsa_next_free_vgpr 102
		.amdhsa_next_free_sgpr 27
		.amdhsa_accum_offset 104
		.amdhsa_reserve_vcc 1
		.amdhsa_float_round_mode_32 0
		.amdhsa_float_round_mode_16_64 0
		.amdhsa_float_denorm_mode_32 3
		.amdhsa_float_denorm_mode_16_64 3
		.amdhsa_dx10_clamp 1
		.amdhsa_ieee_mode 1
		.amdhsa_fp16_overflow 0
		.amdhsa_tg_split 0
		.amdhsa_exception_fp_ieee_invalid_op 0
		.amdhsa_exception_fp_denorm_src 0
		.amdhsa_exception_fp_ieee_div_zero 0
		.amdhsa_exception_fp_ieee_overflow 0
		.amdhsa_exception_fp_ieee_underflow 0
		.amdhsa_exception_fp_ieee_inexact 0
		.amdhsa_exception_int_div_zero 0
	.end_amdhsa_kernel
	.section	.text._Z16wvSplitK_hf_sml_I14__hip_bfloat16Li64ELi4ELi16ELi8ELi1ELi4EEviiPKT_S3_PS1_ii,"axG",@progbits,_Z16wvSplitK_hf_sml_I14__hip_bfloat16Li64ELi4ELi16ELi8ELi1ELi4EEviiPKT_S3_PS1_ii,comdat
.Lfunc_end29:
	.size	_Z16wvSplitK_hf_sml_I14__hip_bfloat16Li64ELi4ELi16ELi8ELi1ELi4EEviiPKT_S3_PS1_ii, .Lfunc_end29-_Z16wvSplitK_hf_sml_I14__hip_bfloat16Li64ELi4ELi16ELi8ELi1ELi4EEviiPKT_S3_PS1_ii
                                        ; -- End function
	.section	.AMDGPU.csdata,"",@progbits
; Kernel info:
; codeLenInByte = 4892
; NumSgprs: 33
; NumVgprs: 102
; NumAgprs: 0
; TotalNumVgprs: 102
; ScratchSize: 0
; MemoryBound: 0
; FloatMode: 240
; IeeeMode: 1
; LDSByteSize: 65536 bytes/workgroup (compile time only)
; SGPRBlocks: 4
; VGPRBlocks: 12
; NumSGPRsForWavesPerEU: 33
; NumVGPRsForWavesPerEU: 102
; AccumOffset: 104
; Occupancy: 4
; WaveLimiterHint : 0
; COMPUTE_PGM_RSRC2:SCRATCH_EN: 0
; COMPUTE_PGM_RSRC2:USER_SGPR: 2
; COMPUTE_PGM_RSRC2:TRAP_HANDLER: 0
; COMPUTE_PGM_RSRC2:TGID_X_EN: 1
; COMPUTE_PGM_RSRC2:TGID_Y_EN: 0
; COMPUTE_PGM_RSRC2:TGID_Z_EN: 0
; COMPUTE_PGM_RSRC2:TIDIG_COMP_CNT: 1
; COMPUTE_PGM_RSRC3_GFX90A:ACCUM_OFFSET: 25
; COMPUTE_PGM_RSRC3_GFX90A:TG_SPLIT: 0
	.section	.text._Z12wvSplitK_hf_I14__hip_bfloat16Li64ELi7ELi16ELi8ELi1ELi4EEviiPKT_S3_PS1_ii,"axG",@progbits,_Z12wvSplitK_hf_I14__hip_bfloat16Li64ELi7ELi16ELi8ELi1ELi4EEviiPKT_S3_PS1_ii,comdat
	.protected	_Z12wvSplitK_hf_I14__hip_bfloat16Li64ELi7ELi16ELi8ELi1ELi4EEviiPKT_S3_PS1_ii ; -- Begin function _Z12wvSplitK_hf_I14__hip_bfloat16Li64ELi7ELi16ELi8ELi1ELi4EEviiPKT_S3_PS1_ii
	.globl	_Z12wvSplitK_hf_I14__hip_bfloat16Li64ELi7ELi16ELi8ELi1ELi4EEviiPKT_S3_PS1_ii
	.p2align	8
	.type	_Z12wvSplitK_hf_I14__hip_bfloat16Li64ELi7ELi16ELi8ELi1ELi4EEviiPKT_S3_PS1_ii,@function
_Z12wvSplitK_hf_I14__hip_bfloat16Li64ELi7ELi16ELi8ELi1ELi4EEviiPKT_S3_PS1_ii: ; @_Z12wvSplitK_hf_I14__hip_bfloat16Li64ELi7ELi16ELi8ELi1ELi4EEviiPKT_S3_PS1_ii
; %bb.0:
	s_load_dwordx2 s[6:7], s[0:1], 0x0
	s_load_dwordx2 s[8:9], s[0:1], 0x10
	v_and_b32_e32 v2, 0x3ff, v0
	v_bfe_u32 v3, v0, 10, 10
	v_lshlrev_b32_e32 v86, 3, v2
	s_waitcnt lgkmcnt(0)
	s_lshl_b32 s22, s6, 2
	s_cmp_lg_u32 s6, 0
	s_mov_b32 s3, 0
	s_cselect_b64 s[4:5], -1, 0
	s_cmp_eq_u32 s6, 0
	v_lshlrev_b32_e32 v81, 4, v2
	s_cbranch_scc1 .LBB30_6
; %bb.1:
	v_lshlrev_b32_e32 v0, 4, v2
	s_min_i32 s16, s22, 0x8000
	v_lshl_add_u32 v4, v3, 10, v0
	v_lshl_add_u32 v5, v3, 9, v86
	s_mov_b64 s[10:11], 0
	v_mov_b32_e32 v1, 0
                                        ; implicit-def: $sgpr12_sgpr13
	s_branch .LBB30_3
.LBB30_2:                               ;   in Loop: Header=BB30_3 Depth=1
	s_or_b64 exec, exec, s[14:15]
	s_and_b64 s[14:15], exec, s[12:13]
	s_or_b64 s[10:11], s[14:15], s[10:11]
	s_andn2_b64 exec, exec, s[10:11]
	s_cbranch_execz .LBB30_5
.LBB30_3:                               ; =>This Inner Loop Header: Depth=1
	v_add_u32_e32 v0, s3, v5
	v_cmp_gt_u32_e32 vcc, s16, v0
	s_or_b64 s[12:13], s[12:13], exec
	s_and_saveexec_b64 s[14:15], vcc
	s_cbranch_execz .LBB30_2
; %bb.4:                                ;   in Loop: Header=BB30_3 Depth=1
	v_lshl_add_u64 v[6:7], v[0:1], 1, s[8:9]
	global_load_dwordx4 v[6:9], v[6:7], off
	s_addk_i32 s3, 0x2000
	s_cmp_ge_u32 s3, s16
	s_cselect_b64 s[18:19], -1, 0
	s_andn2_b64 s[12:13], s[12:13], exec
	s_and_b64 s[18:19], s[18:19], exec
	s_or_b64 s[12:13], s[12:13], s[18:19]
	s_waitcnt vmcnt(0)
	ds_write_b128 v4, v[6:9]
	v_add_u32_e32 v4, 0x4000, v4
	s_branch .LBB30_2
.LBB30_5:
	s_or_b64 exec, exec, s[10:11]
.LBB30_6:
	s_load_dwordx2 s[14:15], s[0:1], 0x20
	s_add_i32 s23, s7, -7
	v_mov_b32_e32 v0, s23
	s_waitcnt lgkmcnt(0)
	s_barrier
	s_mul_i32 s2, s2, s14
	v_add_u32_e32 v1, s2, v3
	v_mul_lo_u32 v1, v1, 7
	v_add_u32_e32 v4, 7, v1
	v_cmp_le_u32_e32 vcc, s7, v1
	v_cmp_gt_u32_e64 s[2:3], s7, v4
	s_or_b64 vcc, vcc, s[2:3]
	v_cndmask_b32_e32 v40, v0, v1, vcc
	v_cmp_gt_u32_e32 vcc, s14, v3
	v_cmp_gt_u32_e64 s[2:3], s7, v40
	s_and_b64 s[2:3], vcc, s[2:3]
	s_and_saveexec_b64 s[10:11], s[2:3]
	s_cbranch_execz .LBB30_153
; %bb.7:
	s_load_dwordx2 s[10:11], s[0:1], 0x8
	s_load_dwordx2 s[12:13], s[0:1], 0x18
	s_lshl_b32 s25, s6, 1
	v_add_u32_e32 v87, s25, v86
	v_mad_u64_u32 v[0:1], s[2:3], s6, 3, v[86:87]
	s_mul_i32 s24, s14, s15
	s_ashr_i32 s15, s6, 31
	s_mov_b32 s14, s6
	scratch_store_dwordx2 off, v[0:1], off offset:168 ; 8-byte Folded Spill
	v_cndmask_b32_e64 v0, 0, 1, s[4:5]
	v_cmp_eq_u32_e64 s[0:1], 63, v2
	s_mul_i32 s24, s24, 7
	s_lshl_b64 s[16:17], s[14:15], 1
	s_mul_i32 s26, s6, 6
	v_add_u32_e32 v77, s6, v86
	s_mov_b64 s[18:19], 0
	v_cmp_ne_u32_e64 s[2:3], 1, v0
	v_mov_b32_e32 v79, 0
	s_movk_i32 s27, 0x7fff
	s_mov_b32 s28, 0x7f800000
                                        ; implicit-def: $vgpr46_vgpr47
                                        ; implicit-def: $vgpr38_vgpr39
                                        ; implicit-def: $vgpr34_vgpr35
                                        ; implicit-def: $vgpr30_vgpr31
                                        ; implicit-def: $vgpr24_vgpr25_vgpr26_vgpr27
                                        ; implicit-def: $vgpr20_vgpr21_vgpr22_vgpr23
                                        ; implicit-def: $vgpr16_vgpr17_vgpr18_vgpr19
                                        ; implicit-def: $vgpr12_vgpr13_vgpr14_vgpr15
                                        ; implicit-def: $vgpr8_vgpr9_vgpr10_vgpr11
                                        ; implicit-def: $vgpr4_vgpr5_vgpr6_vgpr7
                                        ; implicit-def: $vgpr0_vgpr1_vgpr2_vgpr3
	s_branch .LBB30_10
.LBB30_8:                               ;   in Loop: Header=BB30_10 Depth=1
	s_or_b64 exec, exec, s[20:21]
	v_add_u32_e32 v78, 6, v78
	v_lshl_add_u64 v[42:43], v[78:79], 1, s[12:13]
	global_store_short_d16_hi v[42:43], v41, off
.LBB30_9:                               ;   in Loop: Header=BB30_10 Depth=1
	s_or_b64 exec, exec, s[4:5]
	s_waitcnt vmcnt(0)
	v_add_u32_e32 v40, s24, v50
	v_add_u32_e32 v41, 7, v40
	v_cmp_le_u32_e32 vcc, s7, v40
	v_cmp_gt_u32_e64 s[4:5], s7, v41
	v_mov_b32_e32 v41, s23
	s_or_b64 vcc, vcc, s[4:5]
	v_cndmask_b32_e32 v40, v41, v40, vcc
	v_cmp_le_u32_e32 vcc, s7, v40
	s_or_b64 s[18:19], vcc, s[18:19]
	s_andn2_b64 exec, exec, s[18:19]
	s_cbranch_execz .LBB30_153
.LBB30_10:                              ; =>This Loop Header: Depth=1
                                        ;     Child Loop BB30_13 Depth 2
	s_and_b64 vcc, exec, s[2:3]
	scratch_store_dwordx2 off, v[40:41], off offset:176 ; 8-byte Folded Spill
	s_cbranch_vccnz .LBB30_39
; %bb.11:                               ;   in Loop: Header=BB30_10 Depth=1
	v_mad_u64_u32 v[40:41], s[4:5], v40, s6, v[86:87]
	scratch_store_dwordx2 off, v[40:41], off offset:160 ; 8-byte Folded Spill
	v_mov_b32_e32 v40, 0
	s_mov_b32 s29, 0
	v_mov_b32_e32 v80, v81
	v_mov_b32_e32 v41, v40
	;; [unrolled: 1-line block ×72, first 2 shown]
	scratch_store_dwordx4 off, v[48:51], off ; 16-byte Folded Spill
	scratch_store_dwordx4 off, v[48:51], off offset:16 ; 16-byte Folded Spill
	scratch_store_dwordx4 off, v[48:51], off offset:32 ; 16-byte Folded Spill
	;; [unrolled: 1-line block ×9, first 2 shown]
	s_branch .LBB30_13
.LBB30_12:                              ;   in Loop: Header=BB30_13 Depth=2
	s_or_b64 exec, exec, s[4:5]
	s_addk_i32 s29, 0x200
	s_cmp_ge_u32 s29, s6
	v_add_u32_e32 v80, 0x400, v80
	s_cbranch_scc1 .LBB30_40
.LBB30_13:                              ;   Parent Loop BB30_10 Depth=1
                                        ; =>  This Inner Loop Header: Depth=2
	v_add_u32_e32 v76, s29, v86
	v_cmp_gt_u32_e32 vcc, s6, v76
	s_and_saveexec_b64 s[20:21], vcc
	s_cbranch_execnz .LBB30_18
; %bb.14:                               ;   in Loop: Header=BB30_13 Depth=2
	s_or_b64 exec, exec, s[20:21]
	s_and_saveexec_b64 s[4:5], vcc
	s_cbranch_execnz .LBB30_35
.LBB30_15:                              ;   in Loop: Header=BB30_13 Depth=2
	s_or_b64 exec, exec, s[4:5]
	s_and_saveexec_b64 s[4:5], vcc
	s_cbranch_execnz .LBB30_36
.LBB30_16:                              ;   in Loop: Header=BB30_13 Depth=2
	s_or_b64 exec, exec, s[4:5]
	s_and_saveexec_b64 s[4:5], vcc
	s_cbranch_execnz .LBB30_37
.LBB30_17:                              ;   in Loop: Header=BB30_13 Depth=2
	s_or_b64 exec, exec, s[4:5]
	s_and_saveexec_b64 s[4:5], vcc
	s_cbranch_execz .LBB30_12
	s_branch .LBB30_38
.LBB30_18:                              ;   in Loop: Header=BB30_13 Depth=2
	scratch_load_dwordx2 v[0:1], off, off offset:160 ; 8-byte Folded Reload
	v_cmp_lt_u32_e64 s[4:5], s27, v76
                                        ; implicit-def: $vgpr28_vgpr29
	s_waitcnt vmcnt(0)
	v_add_u32_e32 v78, s29, v0
	s_waitcnt lgkmcnt(0)
	v_lshl_add_u64 v[0:1], v[78:79], 1, s[10:11]
	v_lshl_add_u64 v[8:9], s[14:15], 1, v[0:1]
	global_load_dwordx4 v[0:3], v[0:1], off nt
	s_nop 0
	global_load_dwordx4 v[4:7], v[8:9], off nt
	v_lshl_add_u64 v[8:9], v[8:9], 0, s[16:17]
	v_lshl_add_u64 v[16:17], v[8:9], 0, s[16:17]
	global_load_dwordx4 v[8:11], v[8:9], off nt
	s_nop 0
	global_load_dwordx4 v[12:15], v[16:17], off nt
	v_lshl_add_u64 v[16:17], v[16:17], 0, s[16:17]
	v_lshl_add_u64 v[24:25], v[16:17], 0, s[16:17]
	global_load_dwordx4 v[16:19], v[16:17], off nt
	s_nop 0
	global_load_dwordx4 v[20:23], v[24:25], off nt
	v_lshl_add_u64 v[24:25], v[24:25], 0, s[16:17]
	global_load_dwordx4 v[24:27], v[24:25], off nt
	s_and_saveexec_b64 s[30:31], s[4:5]
	s_xor_b64 s[4:5], exec, s[30:31]
	s_cbranch_execz .LBB30_20
; %bb.19:                               ;   in Loop: Header=BB30_13 Depth=2
	v_mov_b32_e32 v30, v77
	v_mov_b32_e32 v77, v79
	v_lshl_add_u64 v[28:29], v[76:77], 1, s[8:9]
	v_mov_b32_e32 v77, v30
	global_load_dwordx4 v[28:31], v[28:29], off
.LBB30_20:                              ;   in Loop: Header=BB30_13 Depth=2
	s_andn2_saveexec_b64 s[4:5], s[4:5]
	s_cbranch_execz .LBB30_22
; %bb.21:                               ;   in Loop: Header=BB30_13 Depth=2
	s_waitcnt vmcnt(0)
	ds_read_b128 v[28:31], v80
.LBB30_22:                              ;   in Loop: Header=BB30_13 Depth=2
	s_or_b64 exec, exec, s[4:5]
	v_add_u32_e32 v78, s29, v77
	v_cmp_lt_u32_e64 s[4:5], s27, v78
                                        ; implicit-def: $vgpr32_vgpr33
	s_and_saveexec_b64 s[30:31], s[4:5]
	s_xor_b64 s[4:5], exec, s[30:31]
	s_cbranch_execz .LBB30_24
; %bb.23:                               ;   in Loop: Header=BB30_13 Depth=2
	v_lshl_add_u64 v[32:33], v[78:79], 1, s[8:9]
	global_load_dwordx4 v[32:35], v[32:33], off
.LBB30_24:                              ;   in Loop: Header=BB30_13 Depth=2
	s_andn2_saveexec_b64 s[4:5], s[4:5]
	s_cbranch_execz .LBB30_26
; %bb.25:                               ;   in Loop: Header=BB30_13 Depth=2
	s_waitcnt vmcnt(0)
	v_add_u32_e32 v32, s25, v80
	ds_read_b128 v[32:35], v32
.LBB30_26:                              ;   in Loop: Header=BB30_13 Depth=2
	s_or_b64 exec, exec, s[4:5]
	v_add_u32_e32 v78, s29, v87
	v_cmp_lt_u32_e64 s[4:5], s27, v78
                                        ; implicit-def: $vgpr36_vgpr37
	s_and_saveexec_b64 s[30:31], s[4:5]
	s_xor_b64 s[4:5], exec, s[30:31]
	s_cbranch_execz .LBB30_28
; %bb.27:                               ;   in Loop: Header=BB30_13 Depth=2
	v_lshl_add_u64 v[36:37], v[78:79], 1, s[8:9]
	global_load_dwordx4 v[36:39], v[36:37], off
.LBB30_28:                              ;   in Loop: Header=BB30_13 Depth=2
	s_andn2_saveexec_b64 s[4:5], s[4:5]
	s_cbranch_execz .LBB30_30
; %bb.29:                               ;   in Loop: Header=BB30_13 Depth=2
	s_waitcnt vmcnt(0)
	v_add_u32_e32 v38, s22, v80
	ds_read2_b32 v[36:37], v38 offset1:1
	ds_read2_b32 v[38:39], v38 offset0:2 offset1:3
.LBB30_30:                              ;   in Loop: Header=BB30_13 Depth=2
	s_or_b64 exec, exec, s[4:5]
	scratch_load_dwordx2 v[44:45], off, off offset:168 ; 8-byte Folded Reload
	s_waitcnt vmcnt(0)
	v_add_u32_e32 v78, s29, v44
	v_cmp_lt_u32_e64 s[4:5], s27, v78
                                        ; implicit-def: $vgpr44_vgpr45
	s_and_saveexec_b64 s[30:31], s[4:5]
	s_xor_b64 s[4:5], exec, s[30:31]
	s_cbranch_execz .LBB30_32
; %bb.31:                               ;   in Loop: Header=BB30_13 Depth=2
	v_lshl_add_u64 v[44:45], v[78:79], 1, s[8:9]
	global_load_dwordx4 v[44:47], v[44:45], off
.LBB30_32:                              ;   in Loop: Header=BB30_13 Depth=2
	s_andn2_saveexec_b64 s[4:5], s[4:5]
	s_cbranch_execz .LBB30_34
; %bb.33:                               ;   in Loop: Header=BB30_13 Depth=2
	s_waitcnt vmcnt(0)
	v_add_u32_e32 v44, s26, v80
	ds_read_b128 v[44:47], v44
.LBB30_34:                              ;   in Loop: Header=BB30_13 Depth=2
	s_or_b64 exec, exec, s[4:5]
	s_or_b64 exec, exec, s[20:21]
	s_and_saveexec_b64 s[4:5], vcc
	s_cbranch_execz .LBB30_15
.LBB30_35:                              ;   in Loop: Header=BB30_13 Depth=2
	s_waitcnt lgkmcnt(0)
	v_mfma_f32_4x4x4_16b_bf16 v[72:75], v[28:29], v[0:1], v[72:75]
	v_mfma_f32_4x4x4_16b_bf16 v[68:71], v[28:29], v[4:5], v[68:71]
	;; [unrolled: 1-line block ×14, first 2 shown]
	s_or_b64 exec, exec, s[4:5]
	s_and_saveexec_b64 s[4:5], vcc
	s_cbranch_execz .LBB30_16
.LBB30_36:                              ;   in Loop: Header=BB30_13 Depth=2
	s_waitcnt lgkmcnt(0)
	v_mfma_f32_4x4x4_16b_bf16 v[124:127], v[32:33], v[0:1], v[124:127]
	v_mfma_f32_4x4x4_16b_bf16 v[120:123], v[32:33], v[4:5], v[120:123]
	;; [unrolled: 1-line block ×14, first 2 shown]
	s_or_b64 exec, exec, s[4:5]
	s_and_saveexec_b64 s[4:5], vcc
	s_cbranch_execz .LBB30_17
.LBB30_37:                              ;   in Loop: Header=BB30_13 Depth=2
	scratch_load_dwordx4 v[82:85], off, off offset:144 ; 16-byte Folded Reload
	s_waitcnt lgkmcnt(0)
	v_mfma_f32_4x4x4_16b_bf16 v[96:99], v[36:37], v[0:1], v[96:99]
	v_mfma_f32_4x4x4_16b_bf16 v[92:95], v[36:37], v[4:5], v[92:95]
	v_mfma_f32_4x4x4_16b_bf16 v[88:91], v[36:37], v[8:9], v[88:91]
	v_mfma_f32_4x4x4_16b_bf16 v[96:99], v[38:39], v[2:3], v[96:99]
	v_mfma_f32_4x4x4_16b_bf16 v[92:95], v[38:39], v[6:7], v[92:95]
	v_mfma_f32_4x4x4_16b_bf16 v[88:91], v[38:39], v[10:11], v[88:91]
	s_waitcnt vmcnt(0)
	v_mfma_f32_4x4x4_16b_bf16 v[82:85], v[36:37], v[12:13], v[82:85]
	s_nop 1
	v_mfma_f32_4x4x4_16b_bf16 v[82:85], v[38:39], v[14:15], v[82:85]
	s_nop 4
	scratch_store_dwordx4 off, v[82:85], off offset:144 ; 16-byte Folded Spill
	scratch_load_dwordx4 v[82:85], off, off offset:128 ; 16-byte Folded Reload
	s_waitcnt vmcnt(0)
	v_mfma_f32_4x4x4_16b_bf16 v[82:85], v[36:37], v[16:17], v[82:85]
	s_nop 1
	v_mfma_f32_4x4x4_16b_bf16 v[82:85], v[38:39], v[18:19], v[82:85]
	s_nop 4
	scratch_store_dwordx4 off, v[82:85], off offset:128 ; 16-byte Folded Spill
	scratch_load_dwordx4 v[82:85], off, off offset:112 ; 16-byte Folded Reload
	;; [unrolled: 7-line block ×3, first 2 shown]
	s_waitcnt vmcnt(0)
	v_mfma_f32_4x4x4_16b_bf16 v[82:85], v[36:37], v[24:25], v[82:85]
	s_nop 1
	v_mfma_f32_4x4x4_16b_bf16 v[82:85], v[38:39], v[26:27], v[82:85]
	s_nop 4
	scratch_store_dwordx4 off, v[82:85], off offset:96 ; 16-byte Folded Spill
	s_or_b64 exec, exec, s[4:5]
	s_and_saveexec_b64 s[4:5], vcc
	s_cbranch_execz .LBB30_12
.LBB30_38:                              ;   in Loop: Header=BB30_13 Depth=2
	scratch_load_dwordx4 v[82:85], off, off offset:80 ; 16-byte Folded Reload
	s_waitcnt vmcnt(1) lgkmcnt(0)
	v_mfma_f32_4x4x4_16b_bf16 v[40:43], v[44:45], v[24:25], v[40:43]
	s_waitcnt vmcnt(0)
	v_mfma_f32_4x4x4_16b_bf16 v[82:85], v[44:45], v[0:1], v[82:85]
	s_nop 1
	v_mfma_f32_4x4x4_16b_bf16 v[82:85], v[46:47], v[2:3], v[82:85]
	v_mfma_f32_4x4x4_16b_bf16 v[40:43], v[46:47], v[26:27], v[40:43]
	s_nop 3
	scratch_store_dwordx4 off, v[82:85], off offset:80 ; 16-byte Folded Spill
	scratch_load_dwordx4 v[82:85], off, off offset:64 ; 16-byte Folded Reload
	s_waitcnt vmcnt(0)
	v_mfma_f32_4x4x4_16b_bf16 v[82:85], v[44:45], v[4:5], v[82:85]
	s_nop 1
	v_mfma_f32_4x4x4_16b_bf16 v[82:85], v[46:47], v[6:7], v[82:85]
	s_nop 4
	scratch_store_dwordx4 off, v[82:85], off offset:64 ; 16-byte Folded Spill
	scratch_load_dwordx4 v[82:85], off, off offset:48 ; 16-byte Folded Reload
	s_waitcnt vmcnt(0)
	v_mfma_f32_4x4x4_16b_bf16 v[82:85], v[44:45], v[8:9], v[82:85]
	s_nop 1
	;; [unrolled: 7-line block ×4, first 2 shown]
	v_mfma_f32_4x4x4_16b_bf16 v[82:85], v[46:47], v[18:19], v[82:85]
	s_nop 4
	scratch_store_dwordx4 off, v[82:85], off offset:16 ; 16-byte Folded Spill
	scratch_load_dwordx4 v[82:85], off, off ; 16-byte Folded Reload
	s_waitcnt vmcnt(0)
	v_mfma_f32_4x4x4_16b_bf16 v[82:85], v[44:45], v[20:21], v[82:85]
	s_nop 1
	v_mfma_f32_4x4x4_16b_bf16 v[82:85], v[46:47], v[22:23], v[82:85]
	s_nop 4
	scratch_store_dwordx4 off, v[82:85], off ; 16-byte Folded Spill
	s_branch .LBB30_12
.LBB30_39:                              ;   in Loop: Header=BB30_10 Depth=1
	v_mov_b32_e32 v75, v79
	v_mov_b32_e32 v74, v79
	;; [unrolled: 1-line block ×72, first 2 shown]
	scratch_store_dwordx4 off, v[40:43], off offset:144 ; 16-byte Folded Spill
	scratch_store_dwordx4 off, v[40:43], off offset:128 ; 16-byte Folded Spill
	;; [unrolled: 1-line block ×9, first 2 shown]
	scratch_store_dwordx4 off, v[40:43], off ; 16-byte Folded Spill
.LBB30_40:                              ;   in Loop: Header=BB30_10 Depth=1
	scratch_load_dwordx4 v[82:85], off, off offset:144 ; 16-byte Folded Reload
	s_waitcnt vmcnt(0)
	;;#ASMSTART
	s_nop 0
	v_add_f32 v82, v83, v82 row_shl:1 bound_ctrl:0 
	;;#ASMEND
	;;#ASMSTART
	s_nop 0
	v_add_f32 v92, v93, v92 row_shl:1 bound_ctrl:0 
	;;#ASMEND
	;;#ASMSTART
	s_nop 0
	v_add_f32 v88, v89, v88 row_shl:1 bound_ctrl:0 
	;;#ASMEND
	;;#ASMSTART
	s_nop 0
	v_add_f32 v72, v73, v72 row_shl:1 bound_ctrl:0 
	;;#ASMEND
	;;#ASMSTART
	s_nop 0
	v_add_f32 v68, v69, v68 row_shl:1 bound_ctrl:0 
	;;#ASMEND
	;;#ASMSTART
	s_nop 0
	v_add_f32 v64, v65, v64 row_shl:1 bound_ctrl:0 
	;;#ASMEND
	s_nop 0
	;;#ASMSTART
	s_nop 0
	v_add_f32 v82, v84, v82 row_shl:2 bound_ctrl:0 
	;;#ASMEND
	;;#ASMSTART
	s_nop 0
	v_add_f32 v92, v94, v92 row_shl:2 bound_ctrl:0 
	;;#ASMEND
	;;#ASMSTART
	s_nop 0
	v_add_f32 v88, v90, v88 row_shl:2 bound_ctrl:0 
	;;#ASMEND
	;;#ASMSTART
	s_nop 0
	v_add_f32 v72, v74, v72 row_shl:2 bound_ctrl:0 
	;;#ASMEND
	;;#ASMSTART
	s_nop 0
	v_add_f32 v68, v70, v68 row_shl:2 bound_ctrl:0 
	;;#ASMEND
	;;#ASMSTART
	s_nop 0
	v_add_f32 v64, v66, v64 row_shl:2 bound_ctrl:0 
	;;#ASMEND
	s_nop 0
	;; [unrolled: 25-line block ×5, first 2 shown]
	;;#ASMSTART
	s_nop 0
	v_mov_b32 v82, v82 row_shr:15 bound_ctrl:0 
	;;#ASMEND
	;;#ASMSTART
	s_nop 0
	v_add_f32 v52, v54, v52 row_shl:2 bound_ctrl:0 
	;;#ASMEND
	;;#ASMSTART
	s_nop 0
	v_add_f32 v48, v50, v48 row_shl:2 bound_ctrl:0 
	;; [unrolled: 4-line block ×5, first 2 shown]
	;;#ASMEND
	s_nop 0
	;;#ASMSTART
	s_nop 0
	v_add_f32 v82, v82, v82 row_bcast:15 bound_ctrl:0
	;;#ASMEND
	;;#ASMSTART
	s_nop 0
	v_add_f32 v112, v114, v112 row_shl:2 bound_ctrl:0 
	;;#ASMEND
	;;#ASMSTART
	s_nop 0
	v_add_f32 v108, v110, v108 row_shl:2 bound_ctrl:0 
	;; [unrolled: 4-line block ×5, first 2 shown]
	;;#ASMEND
	s_nop 0
	;;#ASMSTART
	s_nop 0
	v_add_f32 v82, v82, v82 row_bcast:31 bound_ctrl:0
	;;#ASMEND
	;;#ASMSTART
	s_nop 0
	v_add_f32 v40, v42, v40 row_shl:2 bound_ctrl:0 
	;;#ASMEND
	;;#ASMSTART
	s_nop 0
	v_add_f32 v72, v75, v72 row_shl:3 bound_ctrl:0 
	;; [unrolled: 4-line block ×5, first 2 shown]
	;;#ASMEND
	s_nop 0
	v_mov_b32_e32 v94, v82
	scratch_load_dwordx4 v[82:85], off, off offset:128 ; 16-byte Folded Reload
	s_waitcnt vmcnt(0)
	;;#ASMSTART
	s_nop 0
	v_add_f32 v82, v83, v82 row_shl:1 bound_ctrl:0 
	;;#ASMEND
	;;#ASMSTART
	s_nop 0
	v_add_f32 v56, v59, v56 row_shl:3 bound_ctrl:0 
	;;#ASMEND
	;;#ASMSTART
	s_nop 0
	v_add_f32 v52, v55, v52 row_shl:3 bound_ctrl:0 
	;;#ASMEND
	;;#ASMSTART
	s_nop 0
	v_add_f32 v48, v51, v48 row_shl:3 bound_ctrl:0 
	;;#ASMEND
	;;#ASMSTART
	s_nop 0
	v_add_f32 v124, v127, v124 row_shl:3 bound_ctrl:0 
	;;#ASMEND
	;;#ASMSTART
	s_nop 0
	v_add_f32 v120, v123, v120 row_shl:3 bound_ctrl:0 
	;;#ASMEND
	s_nop 0
	;;#ASMSTART
	s_nop 0
	v_add_f32 v82, v84, v82 row_shl:2 bound_ctrl:0 
	;;#ASMEND
	;;#ASMSTART
	s_nop 0
	v_add_f32 v116, v119, v116 row_shl:3 bound_ctrl:0 
	;;#ASMEND
	;;#ASMSTART
	s_nop 0
	v_add_f32 v112, v115, v112 row_shl:3 bound_ctrl:0 
	;;#ASMEND
	;;#ASMSTART
	s_nop 0
	v_add_f32 v108, v111, v108 row_shl:3 bound_ctrl:0 
	;;#ASMEND
	;;#ASMSTART
	s_nop 0
	v_add_f32 v104, v107, v104 row_shl:3 bound_ctrl:0 
	;;#ASMEND
	;;#ASMSTART
	s_nop 0
	v_add_f32 v100, v103, v100 row_shl:3 bound_ctrl:0 
	;;#ASMEND
	s_nop 0
	;; [unrolled: 25-line block ×5, first 2 shown]
	;;#ASMSTART
	s_nop 0
	v_mov_b32 v82, v82 row_shr:15 bound_ctrl:0 
	;;#ASMEND
	;;#ASMSTART
	s_nop 0
	v_add_f32 v108, v108, v108 row_shl:4 bound_ctrl:0 
	;;#ASMEND
	;;#ASMSTART
	s_nop 0
	v_add_f32 v104, v104, v104 row_shl:4 bound_ctrl:0 
	;; [unrolled: 4-line block ×5, first 2 shown]
	;;#ASMEND
	s_nop 0
	;;#ASMSTART
	s_nop 0
	v_add_f32 v82, v82, v82 row_bcast:15 bound_ctrl:0
	;;#ASMEND
	;;#ASMSTART
	s_nop 0
	v_add_f32 v88, v88, v88 row_shl:4 bound_ctrl:0 
	;;#ASMEND
	;;#ASMSTART
	s_nop 0
	v_add_f32 v40, v40, v40 row_shl:4 bound_ctrl:0 
	;; [unrolled: 4-line block ×5, first 2 shown]
	;;#ASMEND
	s_nop 0
	;;#ASMSTART
	s_nop 0
	v_add_f32 v82, v82, v82 row_bcast:31 bound_ctrl:0
	;;#ASMEND
	;;#ASMSTART
	s_nop 0
	v_add_f32 v60, v60, v60 row_shl:8 bound_ctrl:0 
	;;#ASMEND
	;;#ASMSTART
	s_nop 0
	v_add_f32 v56, v56, v56 row_shl:8 bound_ctrl:0 
	;; [unrolled: 4-line block ×5, first 2 shown]
	;;#ASMEND
	s_nop 0
	v_mov_b32_e32 v90, v82
	scratch_load_dwordx4 v[82:85], off, off offset:112 ; 16-byte Folded Reload
	s_waitcnt vmcnt(0)
	;;#ASMSTART
	s_nop 0
	v_add_f32 v82, v83, v82 row_shl:1 bound_ctrl:0 
	;;#ASMEND
	;;#ASMSTART
	s_nop 0
	v_add_f32 v120, v120, v120 row_shl:8 bound_ctrl:0 
	;;#ASMEND
	;; [unrolled: 4-line block ×6, first 2 shown]
	s_nop 0
	;;#ASMSTART
	s_nop 0
	v_add_f32 v82, v84, v82 row_shl:2 bound_ctrl:0 
	;;#ASMEND
	;;#ASMSTART
	s_nop 0
	v_add_f32 v100, v100, v100 row_shl:8 bound_ctrl:0 
	;;#ASMEND
	;;#ASMSTART
	s_nop 0
	v_add_f32 v96, v96, v96 row_shl:8 bound_ctrl:0 
	;;#ASMEND
	;;#ASMSTART
	s_nop 0
	v_add_f32 v92, v92, v92 row_shl:8 bound_ctrl:0 
	;;#ASMEND
	;;#ASMSTART
	s_nop 0
	v_add_f32 v88, v88, v88 row_shl:8 bound_ctrl:0 
	;;#ASMEND
	;;#ASMSTART
	s_nop 0
	v_add_f32 v40, v40, v40 row_shl:8 bound_ctrl:0 
	;;#ASMEND
	s_nop 0
	;;#ASMSTART
	s_nop 0
	v_add_f32 v82, v85, v82 row_shl:3 bound_ctrl:0 
	;;#ASMEND
	;;#ASMSTART
	s_nop 0
	v_mov_b32 v72, v72 row_shr:15 bound_ctrl:0 
	;;#ASMEND
	;;#ASMSTART
	s_nop 0
	v_mov_b32 v68, v68 row_shr:15 bound_ctrl:0 
	;;#ASMEND
	;;#ASMSTART
	s_nop 0
	v_mov_b32 v64, v64 row_shr:15 bound_ctrl:0 
	;;#ASMEND
	;;#ASMSTART
	s_nop 0
	v_mov_b32 v60, v60 row_shr:15 bound_ctrl:0 
	;;#ASMEND
	;;#ASMSTART
	s_nop 0
	v_mov_b32 v56, v56 row_shr:15 bound_ctrl:0 
	;;#ASMEND
	s_nop 0
	;;#ASMSTART
	s_nop 0
	v_add_f32 v82, v82, v82 row_shl:4 bound_ctrl:0 
	;;#ASMEND
	;;#ASMSTART
	s_nop 0
	v_mov_b32 v52, v52 row_shr:15 bound_ctrl:0 
	;;#ASMEND
	;;#ASMSTART
	s_nop 0
	v_mov_b32 v48, v48 row_shr:15 bound_ctrl:0 
	;;#ASMEND
	;;#ASMSTART
	s_nop 0
	v_mov_b32 v124, v124 row_shr:15 bound_ctrl:0 
	;;#ASMEND
	;;#ASMSTART
	s_nop 0
	v_mov_b32 v120, v120 row_shr:15 bound_ctrl:0 
	;;#ASMEND
	;;#ASMSTART
	s_nop 0
	v_mov_b32 v116, v116 row_shr:15 bound_ctrl:0 
	;;#ASMEND
	;; [unrolled: 25-line block ×3, first 2 shown]
	s_nop 0
	;;#ASMSTART
	s_nop 0
	v_mov_b32 v82, v82 row_shr:15 bound_ctrl:0 
	;;#ASMEND
	;;#ASMSTART
	s_nop 0
	v_mov_b32 v92, v92 row_shr:15 bound_ctrl:0 
	;;#ASMEND
	;; [unrolled: 4-line block ×4, first 2 shown]
	;;#ASMSTART
	s_nop 0
	v_add_f32 v72, v72, v72 row_bcast:15 bound_ctrl:0
	;;#ASMEND
	;;#ASMSTART
	s_nop 0
	v_add_f32 v68, v68, v68 row_bcast:15 bound_ctrl:0
	;;#ASMEND
	s_nop 0
	;;#ASMSTART
	s_nop 0
	v_add_f32 v82, v82, v82 row_bcast:15 bound_ctrl:0
	;;#ASMEND
	;;#ASMSTART
	s_nop 0
	v_add_f32 v64, v64, v64 row_bcast:15 bound_ctrl:0
	;;#ASMEND
	;;#ASMSTART
	s_nop 0
	v_add_f32 v60, v60, v60 row_bcast:15 bound_ctrl:0
	;;#ASMEND
	;;#ASMSTART
	s_nop 0
	v_add_f32 v56, v56, v56 row_bcast:15 bound_ctrl:0
	;;#ASMEND
	;;#ASMSTART
	s_nop 0
	v_add_f32 v52, v52, v52 row_bcast:15 bound_ctrl:0
	;;#ASMEND
	;;#ASMSTART
	s_nop 0
	v_add_f32 v48, v48, v48 row_bcast:15 bound_ctrl:0
	;;#ASMEND
	s_nop 0
	;;#ASMSTART
	s_nop 0
	v_add_f32 v82, v82, v82 row_bcast:31 bound_ctrl:0
	;;#ASMEND
	;;#ASMSTART
	s_nop 0
	v_add_f32 v124, v124, v124 row_bcast:15 bound_ctrl:0
	;;#ASMEND
	;; [unrolled: 4-line block ×6, first 2 shown]
	s_nop 0
	v_mov_b32_e32 v80, v82
	scratch_load_dwordx4 v[82:85], off, off offset:96 ; 16-byte Folded Reload
	s_waitcnt vmcnt(0)
	;;#ASMSTART
	s_nop 0
	v_add_f32 v82, v83, v82 row_shl:1 bound_ctrl:0 
	;;#ASMEND
	;;#ASMSTART
	s_nop 0
	v_add_f32 v104, v104, v104 row_bcast:15 bound_ctrl:0
	;;#ASMEND
	;;#ASMSTART
	s_nop 0
	v_add_f32 v100, v100, v100 row_bcast:15 bound_ctrl:0
	;;#ASMEND
	;;#ASMSTART
	s_nop 0
	v_add_f32 v96, v96, v96 row_bcast:15 bound_ctrl:0
	;;#ASMEND
	;;#ASMSTART
	s_nop 0
	v_add_f32 v92, v92, v92 row_bcast:15 bound_ctrl:0
	;;#ASMEND
	;;#ASMSTART
	s_nop 0
	v_add_f32 v88, v88, v88 row_bcast:15 bound_ctrl:0
	;;#ASMEND
	s_nop 0
	;;#ASMSTART
	s_nop 0
	v_add_f32 v82, v84, v82 row_shl:2 bound_ctrl:0 
	;;#ASMEND
	;;#ASMSTART
	s_nop 0
	v_add_f32 v40, v40, v40 row_bcast:15 bound_ctrl:0
	;;#ASMEND
	;;#ASMSTART
	s_nop 0
	v_add_f32 v72, v72, v72 row_bcast:31 bound_ctrl:0
	;;#ASMEND
	;;#ASMSTART
	s_nop 0
	v_add_f32 v68, v68, v68 row_bcast:31 bound_ctrl:0
	;;#ASMEND
	;;#ASMSTART
	s_nop 0
	v_add_f32 v64, v64, v64 row_bcast:31 bound_ctrl:0
	;;#ASMEND
	;;#ASMSTART
	s_nop 0
	v_add_f32 v60, v60, v60 row_bcast:31 bound_ctrl:0
	;;#ASMEND
	s_nop 0
	;; [unrolled: 25-line block ×4, first 2 shown]
	;;#ASMSTART
	s_nop 0
	v_add_f32 v82, v82, v82 row_shl:8 bound_ctrl:0 
	;;#ASMEND
	;;#ASMSTART
	s_nop 0
	v_add_f32 v96, v96, v96 row_bcast:31 bound_ctrl:0
	;;#ASMEND
	;;#ASMSTART
	s_nop 0
	v_add_f32 v92, v92, v92 row_bcast:31 bound_ctrl:0
	;; [unrolled: 4-line block ×4, first 2 shown]
	;;#ASMEND
	s_nop 0
	;;#ASMSTART
	s_nop 0
	v_mov_b32 v82, v82 row_shr:15 bound_ctrl:0 
	;;#ASMEND
	s_nop 0
	;;#ASMSTART
	s_nop 0
	v_add_f32 v82, v82, v82 row_bcast:15 bound_ctrl:0
	;;#ASMEND
	s_nop 0
	;;#ASMSTART
	s_nop 0
	v_add_f32 v82, v82, v82 row_bcast:31 bound_ctrl:0
	;;#ASMEND
	s_nop 0
	v_mov_b32_e32 v76, v82
	scratch_load_dwordx4 v[82:85], off, off offset:80 ; 16-byte Folded Reload
	s_waitcnt vmcnt(0)
	;;#ASMSTART
	s_nop 0
	v_add_f32 v82, v83, v82 row_shl:1 bound_ctrl:0 
	;;#ASMEND
	s_nop 0
	;;#ASMSTART
	s_nop 0
	v_add_f32 v82, v84, v82 row_shl:2 bound_ctrl:0 
	;;#ASMEND
	s_nop 0
	;;#ASMSTART
	s_nop 0
	v_add_f32 v82, v85, v82 row_shl:3 bound_ctrl:0 
	;;#ASMEND
	s_nop 0
	;;#ASMSTART
	s_nop 0
	v_add_f32 v82, v82, v82 row_shl:4 bound_ctrl:0 
	;;#ASMEND
	s_nop 0
	;;#ASMSTART
	s_nop 0
	v_add_f32 v82, v82, v82 row_shl:8 bound_ctrl:0 
	;;#ASMEND
	s_nop 0
	;;#ASMSTART
	s_nop 0
	v_mov_b32 v82, v82 row_shr:15 bound_ctrl:0 
	;;#ASMEND
	s_nop 0
	;;#ASMSTART
	s_nop 0
	v_add_f32 v82, v82, v82 row_bcast:15 bound_ctrl:0
	;;#ASMEND
	s_nop 0
	;;#ASMSTART
	s_nop 0
	v_add_f32 v82, v82, v82 row_bcast:31 bound_ctrl:0
	;;#ASMEND
	s_nop 0
	v_mov_b32_e32 v74, v82
	scratch_load_dwordx4 v[82:85], off, off offset:64 ; 16-byte Folded Reload
	s_waitcnt vmcnt(0)
	;;#ASMSTART
	s_nop 0
	v_add_f32 v82, v83, v82 row_shl:1 bound_ctrl:0 
	;;#ASMEND
	s_nop 0
	;;#ASMSTART
	s_nop 0
	v_add_f32 v82, v84, v82 row_shl:2 bound_ctrl:0 
	;;#ASMEND
	s_nop 0
	;;#ASMSTART
	s_nop 0
	v_add_f32 v82, v85, v82 row_shl:3 bound_ctrl:0 
	;;#ASMEND
	s_nop 0
	;;#ASMSTART
	s_nop 0
	v_add_f32 v82, v82, v82 row_shl:4 bound_ctrl:0 
	;;#ASMEND
	s_nop 0
	;;#ASMSTART
	s_nop 0
	v_add_f32 v82, v82, v82 row_shl:8 bound_ctrl:0 
	;; [unrolled: 43-line block ×5, first 2 shown]
	;;#ASMEND
	s_nop 0
	;;#ASMSTART
	s_nop 0
	v_mov_b32 v82, v82 row_shr:15 bound_ctrl:0 
	;;#ASMEND
	s_nop 0
	;;#ASMSTART
	s_nop 0
	v_add_f32 v82, v82, v82 row_bcast:15 bound_ctrl:0
	;;#ASMEND
	s_nop 0
	;;#ASMSTART
	s_nop 0
	v_add_f32 v82, v82, v82 row_bcast:31 bound_ctrl:0
	;;#ASMEND
	s_nop 0
	v_mov_b32_e32 v58, v82
	scratch_load_dwordx4 v[82:85], off, off ; 16-byte Folded Reload
	s_waitcnt vmcnt(0)
	;;#ASMSTART
	s_nop 0
	v_add_f32 v82, v83, v82 row_shl:1 bound_ctrl:0 
	;;#ASMEND
	s_nop 0
	;;#ASMSTART
	s_nop 0
	v_add_f32 v82, v84, v82 row_shl:2 bound_ctrl:0 
	;;#ASMEND
	s_nop 0
	;; [unrolled: 5-line block ×5, first 2 shown]
	;;#ASMSTART
	s_nop 0
	v_mov_b32 v82, v82 row_shr:15 bound_ctrl:0 
	;;#ASMEND
	s_nop 0
	;;#ASMSTART
	s_nop 0
	v_add_f32 v82, v82, v82 row_bcast:15 bound_ctrl:0
	;;#ASMEND
	s_nop 0
	;;#ASMSTART
	s_nop 0
	v_add_f32 v82, v82, v82 row_bcast:31 bound_ctrl:0
	;;#ASMEND
	s_nop 0
	v_mov_b32_e32 v54, v82
	s_mov_b64 s[4:5], exec
	scratch_load_dwordx2 v[50:51], off, off offset:176 ; 8-byte Folded Reload
	s_and_b64 s[20:21], s[4:5], s[0:1]
	s_mov_b64 exec, s[20:21]
	s_cbranch_execz .LBB30_9
; %bb.41:                               ;   in Loop: Header=BB30_10 Depth=1
	v_and_b32_e32 v41, 0x7f800000, v72
	v_cmp_ne_u32_e32 vcc, s28, v41
                                        ; implicit-def: $vgpr41
	s_and_saveexec_b64 s[20:21], vcc
	s_xor_b64 s[20:21], exec, s[20:21]
; %bb.42:                               ;   in Loop: Header=BB30_10 Depth=1
	v_bfe_u32 v41, v72, 16, 1
	v_add3_u32 v41, v72, v41, s27
                                        ; implicit-def: $vgpr72
; %bb.43:                               ;   in Loop: Header=BB30_10 Depth=1
	s_andn2_saveexec_b64 s[20:21], s[20:21]
; %bb.44:                               ;   in Loop: Header=BB30_10 Depth=1
	v_or_b32_e32 v41, 0x10000, v72
	v_cmp_eq_u32_sdwa vcc, v72, v79 src0_sel:WORD_0 src1_sel:DWORD
	s_nop 1
	v_cndmask_b32_e32 v41, v41, v72, vcc
; %bb.45:                               ;   in Loop: Header=BB30_10 Depth=1
	s_or_b64 exec, exec, s[20:21]
	s_waitcnt vmcnt(0)
	v_mov_b32_e32 v51, v79
	s_waitcnt lgkmcnt(0)
	v_lshl_add_u64 v[42:43], v[50:51], 1, s[12:13]
	global_store_short_d16_hi v[42:43], v41, off
	v_and_b32_e32 v41, 0x7f800000, v68
	v_cmp_ne_u32_e32 vcc, s28, v41
                                        ; implicit-def: $vgpr41
	s_and_saveexec_b64 s[20:21], vcc
	s_xor_b64 s[20:21], exec, s[20:21]
; %bb.46:                               ;   in Loop: Header=BB30_10 Depth=1
	v_bfe_u32 v41, v68, 16, 1
	v_add3_u32 v41, v68, v41, s27
                                        ; implicit-def: $vgpr68
; %bb.47:                               ;   in Loop: Header=BB30_10 Depth=1
	s_andn2_saveexec_b64 s[20:21], s[20:21]
; %bb.48:                               ;   in Loop: Header=BB30_10 Depth=1
	v_or_b32_e32 v41, 0x10000, v68
	v_cmp_eq_u32_sdwa vcc, v68, v79 src0_sel:WORD_0 src1_sel:DWORD
	s_nop 1
	v_cndmask_b32_e32 v41, v41, v68, vcc
; %bb.49:                               ;   in Loop: Header=BB30_10 Depth=1
	s_or_b64 exec, exec, s[20:21]
	v_add_u32_e32 v78, 1, v50
	v_lshl_add_u64 v[42:43], v[78:79], 1, s[12:13]
	global_store_short_d16_hi v[42:43], v41, off
	v_and_b32_e32 v41, 0x7f800000, v64
	v_cmp_ne_u32_e32 vcc, s28, v41
                                        ; implicit-def: $vgpr41
	s_and_saveexec_b64 s[20:21], vcc
	s_xor_b64 s[20:21], exec, s[20:21]
; %bb.50:                               ;   in Loop: Header=BB30_10 Depth=1
	v_bfe_u32 v41, v64, 16, 1
	v_add3_u32 v41, v64, v41, s27
                                        ; implicit-def: $vgpr64
; %bb.51:                               ;   in Loop: Header=BB30_10 Depth=1
	s_andn2_saveexec_b64 s[20:21], s[20:21]
; %bb.52:                               ;   in Loop: Header=BB30_10 Depth=1
	v_or_b32_e32 v41, 0x10000, v64
	v_cmp_eq_u32_sdwa vcc, v64, v79 src0_sel:WORD_0 src1_sel:DWORD
	s_nop 1
	v_cndmask_b32_e32 v41, v41, v64, vcc
; %bb.53:                               ;   in Loop: Header=BB30_10 Depth=1
	s_or_b64 exec, exec, s[20:21]
	v_add_u32_e32 v78, 2, v50
	v_lshl_add_u64 v[42:43], v[78:79], 1, s[12:13]
	global_store_short_d16_hi v[42:43], v41, off
	v_and_b32_e32 v41, 0x7f800000, v60
	v_cmp_ne_u32_e32 vcc, s28, v41
                                        ; implicit-def: $vgpr41
	s_and_saveexec_b64 s[20:21], vcc
	s_xor_b64 s[20:21], exec, s[20:21]
; %bb.54:                               ;   in Loop: Header=BB30_10 Depth=1
	v_bfe_u32 v41, v60, 16, 1
	v_add3_u32 v41, v60, v41, s27
                                        ; implicit-def: $vgpr60
; %bb.55:                               ;   in Loop: Header=BB30_10 Depth=1
	s_andn2_saveexec_b64 s[20:21], s[20:21]
; %bb.56:                               ;   in Loop: Header=BB30_10 Depth=1
	v_or_b32_e32 v41, 0x10000, v60
	v_cmp_eq_u32_sdwa vcc, v60, v79 src0_sel:WORD_0 src1_sel:DWORD
	s_nop 1
	v_cndmask_b32_e32 v41, v41, v60, vcc
; %bb.57:                               ;   in Loop: Header=BB30_10 Depth=1
	s_or_b64 exec, exec, s[20:21]
	v_add_u32_e32 v78, 3, v50
	v_lshl_add_u64 v[42:43], v[78:79], 1, s[12:13]
	global_store_short_d16_hi v[42:43], v41, off
	v_and_b32_e32 v41, 0x7f800000, v56
	v_cmp_ne_u32_e32 vcc, s28, v41
                                        ; implicit-def: $vgpr41
	s_and_saveexec_b64 s[20:21], vcc
	s_xor_b64 s[20:21], exec, s[20:21]
; %bb.58:                               ;   in Loop: Header=BB30_10 Depth=1
	v_bfe_u32 v41, v56, 16, 1
	v_add3_u32 v41, v56, v41, s27
                                        ; implicit-def: $vgpr56
; %bb.59:                               ;   in Loop: Header=BB30_10 Depth=1
	s_andn2_saveexec_b64 s[20:21], s[20:21]
; %bb.60:                               ;   in Loop: Header=BB30_10 Depth=1
	v_or_b32_e32 v41, 0x10000, v56
	v_cmp_eq_u32_sdwa vcc, v56, v79 src0_sel:WORD_0 src1_sel:DWORD
	s_nop 1
	v_cndmask_b32_e32 v41, v41, v56, vcc
; %bb.61:                               ;   in Loop: Header=BB30_10 Depth=1
	s_or_b64 exec, exec, s[20:21]
	v_add_u32_e32 v78, 4, v50
	v_lshl_add_u64 v[42:43], v[78:79], 1, s[12:13]
	global_store_short_d16_hi v[42:43], v41, off
	v_and_b32_e32 v41, 0x7f800000, v52
	v_cmp_ne_u32_e32 vcc, s28, v41
                                        ; implicit-def: $vgpr41
	s_and_saveexec_b64 s[20:21], vcc
	s_xor_b64 s[20:21], exec, s[20:21]
; %bb.62:                               ;   in Loop: Header=BB30_10 Depth=1
	v_bfe_u32 v41, v52, 16, 1
	v_add3_u32 v41, v52, v41, s27
                                        ; implicit-def: $vgpr52
; %bb.63:                               ;   in Loop: Header=BB30_10 Depth=1
	s_andn2_saveexec_b64 s[20:21], s[20:21]
; %bb.64:                               ;   in Loop: Header=BB30_10 Depth=1
	v_or_b32_e32 v41, 0x10000, v52
	v_cmp_eq_u32_sdwa vcc, v52, v79 src0_sel:WORD_0 src1_sel:DWORD
	s_nop 1
	v_cndmask_b32_e32 v41, v41, v52, vcc
; %bb.65:                               ;   in Loop: Header=BB30_10 Depth=1
	s_or_b64 exec, exec, s[20:21]
	v_add_u32_e32 v78, 5, v50
	v_lshl_add_u64 v[42:43], v[78:79], 1, s[12:13]
	global_store_short_d16_hi v[42:43], v41, off
	v_and_b32_e32 v41, 0x7f800000, v48
	v_cmp_ne_u32_e32 vcc, s28, v41
                                        ; implicit-def: $vgpr41
	s_and_saveexec_b64 s[20:21], vcc
	s_xor_b64 s[20:21], exec, s[20:21]
; %bb.66:                               ;   in Loop: Header=BB30_10 Depth=1
	v_bfe_u32 v41, v48, 16, 1
	v_add3_u32 v41, v48, v41, s27
                                        ; implicit-def: $vgpr48
; %bb.67:                               ;   in Loop: Header=BB30_10 Depth=1
	s_andn2_saveexec_b64 s[20:21], s[20:21]
; %bb.68:                               ;   in Loop: Header=BB30_10 Depth=1
	v_or_b32_e32 v41, 0x10000, v48
	v_cmp_eq_u32_sdwa vcc, v48, v79 src0_sel:WORD_0 src1_sel:DWORD
	s_nop 1
	v_cndmask_b32_e32 v41, v41, v48, vcc
; %bb.69:                               ;   in Loop: Header=BB30_10 Depth=1
	s_or_b64 exec, exec, s[20:21]
	v_add_u32_e32 v78, 6, v50
	v_lshl_add_u64 v[42:43], v[78:79], 1, s[12:13]
	global_store_short_d16_hi v[42:43], v41, off
	v_and_b32_e32 v41, 0x7f800000, v124
	v_cmp_ne_u32_e32 vcc, s28, v41
                                        ; implicit-def: $vgpr41
	s_and_saveexec_b64 s[20:21], vcc
	s_xor_b64 s[20:21], exec, s[20:21]
; %bb.70:                               ;   in Loop: Header=BB30_10 Depth=1
	v_bfe_u32 v41, v124, 16, 1
	v_add3_u32 v41, v124, v41, s27
                                        ; implicit-def: $vgpr124
; %bb.71:                               ;   in Loop: Header=BB30_10 Depth=1
	s_andn2_saveexec_b64 s[20:21], s[20:21]
; %bb.72:                               ;   in Loop: Header=BB30_10 Depth=1
	v_or_b32_e32 v41, 0x10000, v124
	v_cmp_eq_u32_sdwa vcc, v124, v79 src0_sel:WORD_0 src1_sel:DWORD
	s_nop 1
	v_cndmask_b32_e32 v41, v41, v124, vcc
; %bb.73:                               ;   in Loop: Header=BB30_10 Depth=1
	s_or_b64 exec, exec, s[20:21]
	v_add_u32_e32 v78, s7, v50
	v_lshl_add_u64 v[42:43], v[78:79], 1, s[12:13]
	global_store_short_d16_hi v[42:43], v41, off
	v_and_b32_e32 v41, 0x7f800000, v120
	v_cmp_ne_u32_e32 vcc, s28, v41
                                        ; implicit-def: $vgpr41
	s_and_saveexec_b64 s[20:21], vcc
	s_xor_b64 s[20:21], exec, s[20:21]
; %bb.74:                               ;   in Loop: Header=BB30_10 Depth=1
	v_bfe_u32 v41, v120, 16, 1
	v_add3_u32 v41, v120, v41, s27
                                        ; implicit-def: $vgpr120
; %bb.75:                               ;   in Loop: Header=BB30_10 Depth=1
	s_andn2_saveexec_b64 s[20:21], s[20:21]
; %bb.76:                               ;   in Loop: Header=BB30_10 Depth=1
	v_or_b32_e32 v41, 0x10000, v120
	v_cmp_eq_u32_sdwa vcc, v120, v79 src0_sel:WORD_0 src1_sel:DWORD
	s_nop 1
	v_cndmask_b32_e32 v41, v41, v120, vcc
; %bb.77:                               ;   in Loop: Header=BB30_10 Depth=1
	s_or_b64 exec, exec, s[20:21]
	v_add_u32_e32 v42, 1, v78
	v_mov_b32_e32 v43, v79
	v_lshl_add_u64 v[42:43], v[42:43], 1, s[12:13]
	global_store_short_d16_hi v[42:43], v41, off
	v_and_b32_e32 v41, 0x7f800000, v116
	v_cmp_ne_u32_e32 vcc, s28, v41
                                        ; implicit-def: $vgpr41
	s_and_saveexec_b64 s[20:21], vcc
	s_xor_b64 s[20:21], exec, s[20:21]
; %bb.78:                               ;   in Loop: Header=BB30_10 Depth=1
	v_bfe_u32 v41, v116, 16, 1
	v_add3_u32 v41, v116, v41, s27
                                        ; implicit-def: $vgpr116
; %bb.79:                               ;   in Loop: Header=BB30_10 Depth=1
	s_andn2_saveexec_b64 s[20:21], s[20:21]
; %bb.80:                               ;   in Loop: Header=BB30_10 Depth=1
	v_or_b32_e32 v41, 0x10000, v116
	v_cmp_eq_u32_sdwa vcc, v116, v79 src0_sel:WORD_0 src1_sel:DWORD
	s_nop 1
	v_cndmask_b32_e32 v41, v41, v116, vcc
; %bb.81:                               ;   in Loop: Header=BB30_10 Depth=1
	s_or_b64 exec, exec, s[20:21]
	v_add_u32_e32 v42, 2, v78
	v_mov_b32_e32 v43, v79
	v_lshl_add_u64 v[42:43], v[42:43], 1, s[12:13]
	global_store_short_d16_hi v[42:43], v41, off
	v_and_b32_e32 v41, 0x7f800000, v112
	v_cmp_ne_u32_e32 vcc, s28, v41
                                        ; implicit-def: $vgpr41
	s_and_saveexec_b64 s[20:21], vcc
	s_xor_b64 s[20:21], exec, s[20:21]
; %bb.82:                               ;   in Loop: Header=BB30_10 Depth=1
	v_bfe_u32 v41, v112, 16, 1
	v_add3_u32 v41, v112, v41, s27
                                        ; implicit-def: $vgpr112
; %bb.83:                               ;   in Loop: Header=BB30_10 Depth=1
	s_andn2_saveexec_b64 s[20:21], s[20:21]
; %bb.84:                               ;   in Loop: Header=BB30_10 Depth=1
	v_or_b32_e32 v41, 0x10000, v112
	v_cmp_eq_u32_sdwa vcc, v112, v79 src0_sel:WORD_0 src1_sel:DWORD
	s_nop 1
	v_cndmask_b32_e32 v41, v41, v112, vcc
; %bb.85:                               ;   in Loop: Header=BB30_10 Depth=1
	s_or_b64 exec, exec, s[20:21]
	v_add_u32_e32 v42, 3, v78
	v_mov_b32_e32 v43, v79
	v_lshl_add_u64 v[42:43], v[42:43], 1, s[12:13]
	global_store_short_d16_hi v[42:43], v41, off
	v_and_b32_e32 v41, 0x7f800000, v108
	v_cmp_ne_u32_e32 vcc, s28, v41
                                        ; implicit-def: $vgpr41
	s_and_saveexec_b64 s[20:21], vcc
	s_xor_b64 s[20:21], exec, s[20:21]
; %bb.86:                               ;   in Loop: Header=BB30_10 Depth=1
	v_bfe_u32 v41, v108, 16, 1
	v_add3_u32 v41, v108, v41, s27
                                        ; implicit-def: $vgpr108
; %bb.87:                               ;   in Loop: Header=BB30_10 Depth=1
	s_andn2_saveexec_b64 s[20:21], s[20:21]
; %bb.88:                               ;   in Loop: Header=BB30_10 Depth=1
	v_or_b32_e32 v41, 0x10000, v108
	v_cmp_eq_u32_sdwa vcc, v108, v79 src0_sel:WORD_0 src1_sel:DWORD
	s_nop 1
	v_cndmask_b32_e32 v41, v41, v108, vcc
; %bb.89:                               ;   in Loop: Header=BB30_10 Depth=1
	s_or_b64 exec, exec, s[20:21]
	v_add_u32_e32 v42, 4, v78
	v_mov_b32_e32 v43, v79
	v_lshl_add_u64 v[42:43], v[42:43], 1, s[12:13]
	global_store_short_d16_hi v[42:43], v41, off
	v_and_b32_e32 v41, 0x7f800000, v104
	v_cmp_ne_u32_e32 vcc, s28, v41
                                        ; implicit-def: $vgpr41
	s_and_saveexec_b64 s[20:21], vcc
	s_xor_b64 s[20:21], exec, s[20:21]
; %bb.90:                               ;   in Loop: Header=BB30_10 Depth=1
	v_bfe_u32 v41, v104, 16, 1
	v_add3_u32 v41, v104, v41, s27
                                        ; implicit-def: $vgpr104
; %bb.91:                               ;   in Loop: Header=BB30_10 Depth=1
	s_andn2_saveexec_b64 s[20:21], s[20:21]
; %bb.92:                               ;   in Loop: Header=BB30_10 Depth=1
	v_or_b32_e32 v41, 0x10000, v104
	v_cmp_eq_u32_sdwa vcc, v104, v79 src0_sel:WORD_0 src1_sel:DWORD
	s_nop 1
	v_cndmask_b32_e32 v41, v41, v104, vcc
; %bb.93:                               ;   in Loop: Header=BB30_10 Depth=1
	s_or_b64 exec, exec, s[20:21]
	v_add_u32_e32 v42, 5, v78
	v_mov_b32_e32 v43, v79
	v_lshl_add_u64 v[42:43], v[42:43], 1, s[12:13]
	global_store_short_d16_hi v[42:43], v41, off
	v_and_b32_e32 v41, 0x7f800000, v100
	v_cmp_ne_u32_e32 vcc, s28, v41
                                        ; implicit-def: $vgpr41
	s_and_saveexec_b64 s[20:21], vcc
	s_xor_b64 s[20:21], exec, s[20:21]
; %bb.94:                               ;   in Loop: Header=BB30_10 Depth=1
	v_bfe_u32 v41, v100, 16, 1
	v_add3_u32 v41, v100, v41, s27
                                        ; implicit-def: $vgpr100
; %bb.95:                               ;   in Loop: Header=BB30_10 Depth=1
	s_andn2_saveexec_b64 s[20:21], s[20:21]
; %bb.96:                               ;   in Loop: Header=BB30_10 Depth=1
	v_or_b32_e32 v41, 0x10000, v100
	v_cmp_eq_u32_sdwa vcc, v100, v79 src0_sel:WORD_0 src1_sel:DWORD
	s_nop 1
	v_cndmask_b32_e32 v41, v41, v100, vcc
; %bb.97:                               ;   in Loop: Header=BB30_10 Depth=1
	s_or_b64 exec, exec, s[20:21]
	v_add_u32_e32 v42, 6, v78
	v_mov_b32_e32 v43, v79
	v_lshl_add_u64 v[42:43], v[42:43], 1, s[12:13]
	global_store_short_d16_hi v[42:43], v41, off
	v_and_b32_e32 v41, 0x7f800000, v96
	v_cmp_ne_u32_e32 vcc, s28, v41
                                        ; implicit-def: $vgpr41
	s_and_saveexec_b64 s[20:21], vcc
	s_xor_b64 s[20:21], exec, s[20:21]
; %bb.98:                               ;   in Loop: Header=BB30_10 Depth=1
	v_bfe_u32 v41, v96, 16, 1
	v_add3_u32 v41, v96, v41, s27
                                        ; implicit-def: $vgpr96
; %bb.99:                               ;   in Loop: Header=BB30_10 Depth=1
	s_andn2_saveexec_b64 s[20:21], s[20:21]
; %bb.100:                              ;   in Loop: Header=BB30_10 Depth=1
	v_or_b32_e32 v41, 0x10000, v96
	v_cmp_eq_u32_sdwa vcc, v96, v79 src0_sel:WORD_0 src1_sel:DWORD
	s_nop 1
	v_cndmask_b32_e32 v41, v41, v96, vcc
; %bb.101:                              ;   in Loop: Header=BB30_10 Depth=1
	s_or_b64 exec, exec, s[20:21]
	v_add_u32_e32 v78, s7, v78
	v_lshl_add_u64 v[42:43], v[78:79], 1, s[12:13]
	global_store_short_d16_hi v[42:43], v41, off
	v_and_b32_e32 v41, 0x7f800000, v92
	v_cmp_ne_u32_e32 vcc, s28, v41
                                        ; implicit-def: $vgpr41
	s_and_saveexec_b64 s[20:21], vcc
	s_xor_b64 s[20:21], exec, s[20:21]
; %bb.102:                              ;   in Loop: Header=BB30_10 Depth=1
	v_bfe_u32 v41, v92, 16, 1
	v_add3_u32 v41, v92, v41, s27
                                        ; implicit-def: $vgpr92
; %bb.103:                              ;   in Loop: Header=BB30_10 Depth=1
	s_andn2_saveexec_b64 s[20:21], s[20:21]
; %bb.104:                              ;   in Loop: Header=BB30_10 Depth=1
	v_or_b32_e32 v41, 0x10000, v92
	v_cmp_eq_u32_sdwa vcc, v92, v79 src0_sel:WORD_0 src1_sel:DWORD
	s_nop 1
	v_cndmask_b32_e32 v41, v41, v92, vcc
; %bb.105:                              ;   in Loop: Header=BB30_10 Depth=1
	s_or_b64 exec, exec, s[20:21]
	v_add_u32_e32 v42, 1, v78
	v_mov_b32_e32 v43, v79
	v_lshl_add_u64 v[42:43], v[42:43], 1, s[12:13]
	global_store_short_d16_hi v[42:43], v41, off
	v_and_b32_e32 v41, 0x7f800000, v88
	v_cmp_ne_u32_e32 vcc, s28, v41
                                        ; implicit-def: $vgpr41
	s_and_saveexec_b64 s[20:21], vcc
	s_xor_b64 s[20:21], exec, s[20:21]
; %bb.106:                              ;   in Loop: Header=BB30_10 Depth=1
	v_bfe_u32 v41, v88, 16, 1
	v_add3_u32 v41, v88, v41, s27
                                        ; implicit-def: $vgpr88
; %bb.107:                              ;   in Loop: Header=BB30_10 Depth=1
	s_andn2_saveexec_b64 s[20:21], s[20:21]
; %bb.108:                              ;   in Loop: Header=BB30_10 Depth=1
	v_or_b32_e32 v41, 0x10000, v88
	v_cmp_eq_u32_sdwa vcc, v88, v79 src0_sel:WORD_0 src1_sel:DWORD
	s_nop 1
	v_cndmask_b32_e32 v41, v41, v88, vcc
; %bb.109:                              ;   in Loop: Header=BB30_10 Depth=1
	s_or_b64 exec, exec, s[20:21]
	v_add_u32_e32 v42, 2, v78
	v_mov_b32_e32 v43, v79
	v_lshl_add_u64 v[42:43], v[42:43], 1, s[12:13]
	global_store_short_d16_hi v[42:43], v41, off
	v_and_b32_e32 v41, 0x7f800000, v94
	v_cmp_ne_u32_e32 vcc, s28, v41
                                        ; implicit-def: $vgpr41
	s_and_saveexec_b64 s[20:21], vcc
	s_xor_b64 s[20:21], exec, s[20:21]
; %bb.110:                              ;   in Loop: Header=BB30_10 Depth=1
	v_bfe_u32 v41, v94, 16, 1
	v_add3_u32 v41, v94, v41, s27
                                        ; implicit-def: $vgpr94
; %bb.111:                              ;   in Loop: Header=BB30_10 Depth=1
	s_andn2_saveexec_b64 s[20:21], s[20:21]
; %bb.112:                              ;   in Loop: Header=BB30_10 Depth=1
	v_or_b32_e32 v41, 0x10000, v94
	v_cmp_eq_u32_sdwa vcc, v94, v79 src0_sel:WORD_0 src1_sel:DWORD
	s_nop 1
	v_cndmask_b32_e32 v41, v41, v94, vcc
; %bb.113:                              ;   in Loop: Header=BB30_10 Depth=1
	s_or_b64 exec, exec, s[20:21]
	v_add_u32_e32 v42, 3, v78
	v_mov_b32_e32 v43, v79
	v_lshl_add_u64 v[42:43], v[42:43], 1, s[12:13]
	global_store_short_d16_hi v[42:43], v41, off
	v_and_b32_e32 v41, 0x7f800000, v90
	v_cmp_ne_u32_e32 vcc, s28, v41
                                        ; implicit-def: $vgpr41
	s_and_saveexec_b64 s[20:21], vcc
	s_xor_b64 s[20:21], exec, s[20:21]
; %bb.114:                              ;   in Loop: Header=BB30_10 Depth=1
	v_bfe_u32 v41, v90, 16, 1
	v_add3_u32 v41, v90, v41, s27
                                        ; implicit-def: $vgpr90
; %bb.115:                              ;   in Loop: Header=BB30_10 Depth=1
	s_andn2_saveexec_b64 s[20:21], s[20:21]
; %bb.116:                              ;   in Loop: Header=BB30_10 Depth=1
	v_or_b32_e32 v41, 0x10000, v90
	v_cmp_eq_u32_sdwa vcc, v90, v79 src0_sel:WORD_0 src1_sel:DWORD
	s_nop 1
	v_cndmask_b32_e32 v41, v41, v90, vcc
; %bb.117:                              ;   in Loop: Header=BB30_10 Depth=1
	s_or_b64 exec, exec, s[20:21]
	v_add_u32_e32 v42, 4, v78
	v_mov_b32_e32 v43, v79
	v_lshl_add_u64 v[42:43], v[42:43], 1, s[12:13]
	global_store_short_d16_hi v[42:43], v41, off
	v_and_b32_e32 v41, 0x7f800000, v80
	v_cmp_ne_u32_e32 vcc, s28, v41
                                        ; implicit-def: $vgpr41
	s_and_saveexec_b64 s[20:21], vcc
	s_xor_b64 s[20:21], exec, s[20:21]
; %bb.118:                              ;   in Loop: Header=BB30_10 Depth=1
	v_bfe_u32 v41, v80, 16, 1
	v_add3_u32 v41, v80, v41, s27
                                        ; implicit-def: $vgpr80
; %bb.119:                              ;   in Loop: Header=BB30_10 Depth=1
	s_andn2_saveexec_b64 s[20:21], s[20:21]
; %bb.120:                              ;   in Loop: Header=BB30_10 Depth=1
	v_or_b32_e32 v41, 0x10000, v80
	v_cmp_eq_u32_sdwa vcc, v80, v79 src0_sel:WORD_0 src1_sel:DWORD
	s_nop 1
	v_cndmask_b32_e32 v41, v41, v80, vcc
; %bb.121:                              ;   in Loop: Header=BB30_10 Depth=1
	s_or_b64 exec, exec, s[20:21]
	v_add_u32_e32 v42, 5, v78
	v_mov_b32_e32 v43, v79
	v_lshl_add_u64 v[42:43], v[42:43], 1, s[12:13]
	global_store_short_d16_hi v[42:43], v41, off
	v_and_b32_e32 v41, 0x7f800000, v76
	v_cmp_ne_u32_e32 vcc, s28, v41
                                        ; implicit-def: $vgpr41
	s_and_saveexec_b64 s[20:21], vcc
	s_xor_b64 s[20:21], exec, s[20:21]
; %bb.122:                              ;   in Loop: Header=BB30_10 Depth=1
	v_bfe_u32 v41, v76, 16, 1
	v_add3_u32 v41, v76, v41, s27
                                        ; implicit-def: $vgpr76
; %bb.123:                              ;   in Loop: Header=BB30_10 Depth=1
	s_andn2_saveexec_b64 s[20:21], s[20:21]
; %bb.124:                              ;   in Loop: Header=BB30_10 Depth=1
	v_or_b32_e32 v41, 0x10000, v76
	v_cmp_eq_u32_sdwa vcc, v76, v79 src0_sel:WORD_0 src1_sel:DWORD
	s_nop 1
	v_cndmask_b32_e32 v41, v41, v76, vcc
; %bb.125:                              ;   in Loop: Header=BB30_10 Depth=1
	s_or_b64 exec, exec, s[20:21]
	v_add_u32_e32 v42, 6, v78
	v_mov_b32_e32 v43, v79
	v_lshl_add_u64 v[42:43], v[42:43], 1, s[12:13]
	global_store_short_d16_hi v[42:43], v41, off
	v_and_b32_e32 v41, 0x7f800000, v74
	v_cmp_ne_u32_e32 vcc, s28, v41
                                        ; implicit-def: $vgpr41
	s_and_saveexec_b64 s[20:21], vcc
	s_xor_b64 s[20:21], exec, s[20:21]
; %bb.126:                              ;   in Loop: Header=BB30_10 Depth=1
	v_bfe_u32 v41, v74, 16, 1
	v_add3_u32 v41, v74, v41, s27
                                        ; implicit-def: $vgpr74
; %bb.127:                              ;   in Loop: Header=BB30_10 Depth=1
	s_andn2_saveexec_b64 s[20:21], s[20:21]
; %bb.128:                              ;   in Loop: Header=BB30_10 Depth=1
	v_or_b32_e32 v41, 0x10000, v74
	v_cmp_eq_u32_sdwa vcc, v74, v79 src0_sel:WORD_0 src1_sel:DWORD
	s_nop 1
	v_cndmask_b32_e32 v41, v41, v74, vcc
; %bb.129:                              ;   in Loop: Header=BB30_10 Depth=1
	s_or_b64 exec, exec, s[20:21]
	v_add_u32_e32 v78, s7, v78
	v_lshl_add_u64 v[42:43], v[78:79], 1, s[12:13]
	global_store_short_d16_hi v[42:43], v41, off
	v_and_b32_e32 v41, 0x7f800000, v70
	v_cmp_ne_u32_e32 vcc, s28, v41
                                        ; implicit-def: $vgpr41
	s_and_saveexec_b64 s[20:21], vcc
	s_xor_b64 s[20:21], exec, s[20:21]
; %bb.130:                              ;   in Loop: Header=BB30_10 Depth=1
	v_bfe_u32 v41, v70, 16, 1
	v_add3_u32 v41, v70, v41, s27
                                        ; implicit-def: $vgpr70
; %bb.131:                              ;   in Loop: Header=BB30_10 Depth=1
	s_andn2_saveexec_b64 s[20:21], s[20:21]
; %bb.132:                              ;   in Loop: Header=BB30_10 Depth=1
	v_or_b32_e32 v41, 0x10000, v70
	v_cmp_eq_u32_sdwa vcc, v70, v79 src0_sel:WORD_0 src1_sel:DWORD
	s_nop 1
	v_cndmask_b32_e32 v41, v41, v70, vcc
; %bb.133:                              ;   in Loop: Header=BB30_10 Depth=1
	s_or_b64 exec, exec, s[20:21]
	v_add_u32_e32 v42, 1, v78
	v_mov_b32_e32 v43, v79
	v_lshl_add_u64 v[42:43], v[42:43], 1, s[12:13]
	global_store_short_d16_hi v[42:43], v41, off
	v_and_b32_e32 v41, 0x7f800000, v66
	v_cmp_ne_u32_e32 vcc, s28, v41
                                        ; implicit-def: $vgpr41
	s_and_saveexec_b64 s[20:21], vcc
	s_xor_b64 s[20:21], exec, s[20:21]
; %bb.134:                              ;   in Loop: Header=BB30_10 Depth=1
	v_bfe_u32 v41, v66, 16, 1
	v_add3_u32 v41, v66, v41, s27
                                        ; implicit-def: $vgpr66
; %bb.135:                              ;   in Loop: Header=BB30_10 Depth=1
	s_andn2_saveexec_b64 s[20:21], s[20:21]
; %bb.136:                              ;   in Loop: Header=BB30_10 Depth=1
	v_or_b32_e32 v41, 0x10000, v66
	v_cmp_eq_u32_sdwa vcc, v66, v79 src0_sel:WORD_0 src1_sel:DWORD
	s_nop 1
	v_cndmask_b32_e32 v41, v41, v66, vcc
; %bb.137:                              ;   in Loop: Header=BB30_10 Depth=1
	s_or_b64 exec, exec, s[20:21]
	v_add_u32_e32 v42, 2, v78
	v_mov_b32_e32 v43, v79
	v_lshl_add_u64 v[42:43], v[42:43], 1, s[12:13]
	global_store_short_d16_hi v[42:43], v41, off
	v_and_b32_e32 v41, 0x7f800000, v62
	v_cmp_ne_u32_e32 vcc, s28, v41
                                        ; implicit-def: $vgpr41
	s_and_saveexec_b64 s[20:21], vcc
	s_xor_b64 s[20:21], exec, s[20:21]
; %bb.138:                              ;   in Loop: Header=BB30_10 Depth=1
	v_bfe_u32 v41, v62, 16, 1
	v_add3_u32 v41, v62, v41, s27
                                        ; implicit-def: $vgpr62
; %bb.139:                              ;   in Loop: Header=BB30_10 Depth=1
	s_andn2_saveexec_b64 s[20:21], s[20:21]
; %bb.140:                              ;   in Loop: Header=BB30_10 Depth=1
	v_or_b32_e32 v41, 0x10000, v62
	v_cmp_eq_u32_sdwa vcc, v62, v79 src0_sel:WORD_0 src1_sel:DWORD
	s_nop 1
	v_cndmask_b32_e32 v41, v41, v62, vcc
; %bb.141:                              ;   in Loop: Header=BB30_10 Depth=1
	s_or_b64 exec, exec, s[20:21]
	v_add_u32_e32 v42, 3, v78
	v_mov_b32_e32 v43, v79
	v_lshl_add_u64 v[42:43], v[42:43], 1, s[12:13]
	global_store_short_d16_hi v[42:43], v41, off
	v_and_b32_e32 v41, 0x7f800000, v58
	v_cmp_ne_u32_e32 vcc, s28, v41
                                        ; implicit-def: $vgpr41
	s_and_saveexec_b64 s[20:21], vcc
	s_xor_b64 s[20:21], exec, s[20:21]
; %bb.142:                              ;   in Loop: Header=BB30_10 Depth=1
	v_bfe_u32 v41, v58, 16, 1
	v_add3_u32 v41, v58, v41, s27
                                        ; implicit-def: $vgpr58
; %bb.143:                              ;   in Loop: Header=BB30_10 Depth=1
	s_andn2_saveexec_b64 s[20:21], s[20:21]
; %bb.144:                              ;   in Loop: Header=BB30_10 Depth=1
	v_or_b32_e32 v41, 0x10000, v58
	v_cmp_eq_u32_sdwa vcc, v58, v79 src0_sel:WORD_0 src1_sel:DWORD
	s_nop 1
	v_cndmask_b32_e32 v41, v41, v58, vcc
; %bb.145:                              ;   in Loop: Header=BB30_10 Depth=1
	s_or_b64 exec, exec, s[20:21]
	v_add_u32_e32 v42, 4, v78
	v_mov_b32_e32 v43, v79
	v_lshl_add_u64 v[42:43], v[42:43], 1, s[12:13]
	global_store_short_d16_hi v[42:43], v41, off
	v_and_b32_e32 v41, 0x7f800000, v54
	v_cmp_ne_u32_e32 vcc, s28, v41
                                        ; implicit-def: $vgpr41
	s_and_saveexec_b64 s[20:21], vcc
	s_xor_b64 s[20:21], exec, s[20:21]
; %bb.146:                              ;   in Loop: Header=BB30_10 Depth=1
	v_bfe_u32 v41, v54, 16, 1
	v_add3_u32 v41, v54, v41, s27
                                        ; implicit-def: $vgpr54
; %bb.147:                              ;   in Loop: Header=BB30_10 Depth=1
	s_andn2_saveexec_b64 s[20:21], s[20:21]
; %bb.148:                              ;   in Loop: Header=BB30_10 Depth=1
	v_or_b32_e32 v41, 0x10000, v54
	v_cmp_eq_u32_sdwa vcc, v54, v79 src0_sel:WORD_0 src1_sel:DWORD
	s_nop 1
	v_cndmask_b32_e32 v41, v41, v54, vcc
; %bb.149:                              ;   in Loop: Header=BB30_10 Depth=1
	s_or_b64 exec, exec, s[20:21]
	v_add_u32_e32 v42, 5, v78
	v_mov_b32_e32 v43, v79
	v_lshl_add_u64 v[42:43], v[42:43], 1, s[12:13]
	global_store_short_d16_hi v[42:43], v41, off
	v_and_b32_e32 v41, 0x7f800000, v40
	v_cmp_ne_u32_e32 vcc, s28, v41
                                        ; implicit-def: $vgpr41
	s_and_saveexec_b64 s[20:21], vcc
	s_xor_b64 s[20:21], exec, s[20:21]
; %bb.150:                              ;   in Loop: Header=BB30_10 Depth=1
	v_bfe_u32 v41, v40, 16, 1
	v_add3_u32 v41, v40, v41, s27
                                        ; implicit-def: $vgpr40
; %bb.151:                              ;   in Loop: Header=BB30_10 Depth=1
	s_andn2_saveexec_b64 s[20:21], s[20:21]
	s_cbranch_execz .LBB30_8
; %bb.152:                              ;   in Loop: Header=BB30_10 Depth=1
	v_or_b32_e32 v41, 0x10000, v40
	v_cmp_eq_u32_sdwa vcc, v40, v79 src0_sel:WORD_0 src1_sel:DWORD
	s_nop 1
	v_cndmask_b32_e32 v41, v41, v40, vcc
	s_branch .LBB30_8
.LBB30_153:
	s_endpgm
	.section	.rodata,"a",@progbits
	.p2align	6, 0x0
	.amdhsa_kernel _Z12wvSplitK_hf_I14__hip_bfloat16Li64ELi7ELi16ELi8ELi1ELi4EEviiPKT_S3_PS1_ii
		.amdhsa_group_segment_fixed_size 65536
		.amdhsa_private_segment_fixed_size 188
		.amdhsa_kernarg_size 40
		.amdhsa_user_sgpr_count 2
		.amdhsa_user_sgpr_dispatch_ptr 0
		.amdhsa_user_sgpr_queue_ptr 0
		.amdhsa_user_sgpr_kernarg_segment_ptr 1
		.amdhsa_user_sgpr_dispatch_id 0
		.amdhsa_user_sgpr_kernarg_preload_length 0
		.amdhsa_user_sgpr_kernarg_preload_offset 0
		.amdhsa_user_sgpr_private_segment_size 0
		.amdhsa_uses_dynamic_stack 0
		.amdhsa_enable_private_segment 1
		.amdhsa_system_sgpr_workgroup_id_x 1
		.amdhsa_system_sgpr_workgroup_id_y 0
		.amdhsa_system_sgpr_workgroup_id_z 0
		.amdhsa_system_sgpr_workgroup_info 0
		.amdhsa_system_vgpr_workitem_id 1
		.amdhsa_next_free_vgpr 128
		.amdhsa_next_free_sgpr 32
		.amdhsa_accum_offset 128
		.amdhsa_reserve_vcc 1
		.amdhsa_float_round_mode_32 0
		.amdhsa_float_round_mode_16_64 0
		.amdhsa_float_denorm_mode_32 3
		.amdhsa_float_denorm_mode_16_64 3
		.amdhsa_dx10_clamp 1
		.amdhsa_ieee_mode 1
		.amdhsa_fp16_overflow 0
		.amdhsa_tg_split 0
		.amdhsa_exception_fp_ieee_invalid_op 0
		.amdhsa_exception_fp_denorm_src 0
		.amdhsa_exception_fp_ieee_div_zero 0
		.amdhsa_exception_fp_ieee_overflow 0
		.amdhsa_exception_fp_ieee_underflow 0
		.amdhsa_exception_fp_ieee_inexact 0
		.amdhsa_exception_int_div_zero 0
	.end_amdhsa_kernel
	.section	.text._Z12wvSplitK_hf_I14__hip_bfloat16Li64ELi7ELi16ELi8ELi1ELi4EEviiPKT_S3_PS1_ii,"axG",@progbits,_Z12wvSplitK_hf_I14__hip_bfloat16Li64ELi7ELi16ELi8ELi1ELi4EEviiPKT_S3_PS1_ii,comdat
.Lfunc_end30:
	.size	_Z12wvSplitK_hf_I14__hip_bfloat16Li64ELi7ELi16ELi8ELi1ELi4EEviiPKT_S3_PS1_ii, .Lfunc_end30-_Z12wvSplitK_hf_I14__hip_bfloat16Li64ELi7ELi16ELi8ELi1ELi4EEviiPKT_S3_PS1_ii
                                        ; -- End function
	.section	.AMDGPU.csdata,"",@progbits
; Kernel info:
; codeLenInByte = 9224
; NumSgprs: 38
; NumVgprs: 128
; NumAgprs: 0
; TotalNumVgprs: 128
; ScratchSize: 188
; MemoryBound: 1
; FloatMode: 240
; IeeeMode: 1
; LDSByteSize: 65536 bytes/workgroup (compile time only)
; SGPRBlocks: 4
; VGPRBlocks: 15
; NumSGPRsForWavesPerEU: 38
; NumVGPRsForWavesPerEU: 128
; AccumOffset: 128
; Occupancy: 4
; WaveLimiterHint : 0
; COMPUTE_PGM_RSRC2:SCRATCH_EN: 1
; COMPUTE_PGM_RSRC2:USER_SGPR: 2
; COMPUTE_PGM_RSRC2:TRAP_HANDLER: 0
; COMPUTE_PGM_RSRC2:TGID_X_EN: 1
; COMPUTE_PGM_RSRC2:TGID_Y_EN: 0
; COMPUTE_PGM_RSRC2:TGID_Z_EN: 0
; COMPUTE_PGM_RSRC2:TIDIG_COMP_CNT: 1
; COMPUTE_PGM_RSRC3_GFX90A:ACCUM_OFFSET: 31
; COMPUTE_PGM_RSRC3_GFX90A:TG_SPLIT: 0
	.section	.text._Z16wvSplitK_hf_big_I14__hip_bfloat16Li64ELi7ELi16ELi8ELi1ELi4EEviiPKT_S3_PS1_ii,"axG",@progbits,_Z16wvSplitK_hf_big_I14__hip_bfloat16Li64ELi7ELi16ELi8ELi1ELi4EEviiPKT_S3_PS1_ii,comdat
	.protected	_Z16wvSplitK_hf_big_I14__hip_bfloat16Li64ELi7ELi16ELi8ELi1ELi4EEviiPKT_S3_PS1_ii ; -- Begin function _Z16wvSplitK_hf_big_I14__hip_bfloat16Li64ELi7ELi16ELi8ELi1ELi4EEviiPKT_S3_PS1_ii
	.globl	_Z16wvSplitK_hf_big_I14__hip_bfloat16Li64ELi7ELi16ELi8ELi1ELi4EEviiPKT_S3_PS1_ii
	.p2align	8
	.type	_Z16wvSplitK_hf_big_I14__hip_bfloat16Li64ELi7ELi16ELi8ELi1ELi4EEviiPKT_S3_PS1_ii,@function
_Z16wvSplitK_hf_big_I14__hip_bfloat16Li64ELi7ELi16ELi8ELi1ELi4EEviiPKT_S3_PS1_ii: ; @_Z16wvSplitK_hf_big_I14__hip_bfloat16Li64ELi7ELi16ELi8ELi1ELi4EEviiPKT_S3_PS1_ii
; %bb.0:
	s_load_dwordx2 s[4:5], s[0:1], 0x20
	v_bfe_u32 v2, v0, 10, 10
	s_waitcnt lgkmcnt(0)
	v_cmp_gt_u32_e32 vcc, s4, v2
	s_and_saveexec_b64 s[6:7], vcc
	s_cbranch_execz .LBB31_137
; %bb.1:
	s_mul_i32 s33, s4, 7
	s_abs_i32 s6, s33
	v_cvt_f32_u32_e32 v3, s6
	s_load_dwordx2 s[10:11], s[0:1], 0x0
	s_mul_i32 s2, s2, s4
	v_add_u32_e32 v1, s2, v2
	v_mul_lo_u32 v1, v1, 7
	v_rcp_iflag_f32_e32 v3, v3
	v_add_u32_e32 v4, 7, v1
	s_waitcnt lgkmcnt(0)
	v_cmp_le_u32_e32 vcc, s11, v1
	v_cmp_gt_u32_e64 s[2:3], s11, v4
	s_add_i32 s28, s11, -7
	v_mov_b32_e32 v4, s28
	s_or_b64 vcc, vcc, s[2:3]
	v_cndmask_b32_e32 v6, v4, v1, vcc
	v_mul_f32_e32 v1, 0x4f7ffffe, v3
	v_cvt_u32_f32_e32 v1, v1
	s_sub_i32 s7, 0, s6
	s_abs_i32 s3, s11
	s_ashr_i32 s2, s11, 31
	v_readfirstlane_b32 s8, v1
	s_mul_i32 s7, s7, s8
	s_mul_hi_u32 s7, s8, s7
	s_add_i32 s8, s8, s7
	s_mul_hi_u32 s7, s3, s8
	s_mul_i32 s7, s7, s6
	s_sub_i32 s3, s3, s7
	s_sub_i32 s7, s3, s6
	s_cmp_ge_u32 s3, s6
	s_cselect_b32 s3, s7, s3
	s_sub_i32 s7, s3, s6
	s_cmp_ge_u32 s3, s6
	s_cselect_b32 s3, s7, s3
	s_xor_b32 s3, s3, s2
	s_sub_i32 s2, s3, s2
	s_add_i32 s3, s33, s11
	s_sub_i32 s3, s3, s2
	s_cmp_eq_u32 s2, 0
	s_cselect_b32 s29, s11, s3
	v_mov_b32_e32 v4, v6
	v_cmp_gt_u32_e32 vcc, s29, v6
	scratch_store_dwordx2 off, v[4:5], off offset:128 ; 8-byte Folded Spill
	s_and_b64 exec, exec, vcc
	s_cbranch_execz .LBB31_137
; %bb.2:
	s_mov_b32 s2, 0
	v_and_b32_e32 v0, 0x3ff, v0
	v_cvt_f64_i32_e32 v[4:5], s10
	s_mov_b32 s3, 0x40c00000
	s_load_dwordx4 s[12:15], s[0:1], 0x8
	s_load_dwordx2 s[16:17], s[0:1], 0x18
	v_lshlrev_b32_e32 v10, 3, v0
	v_min_f64 v[4:5], v[4:5], s[2:3]
	s_cmp_lg_u32 s10, 0
	v_cmp_eq_u32_e64 s[2:3], 63, v0
	v_lshlrev_b32_e32 v0, 4, v0
	v_lshl_add_u32 v12, v2, 9, v10
	v_cvt_u32_f64_e32 v1, v[4:5]
	s_cselect_b64 s[6:7], -1, 0
	s_lshl_b32 s31, s4, 9
	s_mul_i32 s33, s33, s5
	v_lshl_add_u32 v0, v2, 10, v0
	s_lshl_b32 s34, s4, 10
	v_mad_u64_u32 v[2:3], s[4:5], s10, 3, v[12:13]
	v_readfirstlane_b32 s30, v1
	s_ashr_i32 s19, s10, 31
	s_mov_b32 s18, s10
	scratch_store_dword off, v0, off offset:136 ; 4-byte Folded Spill
	v_lshl_add_u32 v0, s10, 1, v12
	scratch_store_dwordx2 off, v[2:3], off offset:144 ; 8-byte Folded Spill
	v_cndmask_b32_e64 v2, 0, 1, s[6:7]
	v_cmp_ne_u32_e64 s[0:1], 0, v1
	s_lshl_b64 s[20:21], s[18:19], 1
	v_mul_lo_u32 v6, v1, 6
	v_lshlrev_b32_e32 v7, 2, v1
	v_lshlrev_b32_e32 v1, 1, v1
	scratch_store_dword off, v0, off offset:140 ; 4-byte Folded Spill
	v_add_u32_e32 v0, s10, v12
	s_mov_b64 s[22:23], 0
	v_cmp_ne_u32_e64 s[4:5], 1, v2
	v_mov_b32_e32 v3, 0
	s_lshl_b32 s35, s30, 1
	s_mov_b32 s36, 0x7f800000
	s_movk_i32 s37, 0x7fff
	scratch_store_dword off, v0, off offset:152 ; 4-byte Folded Spill
	scratch_store_dword off, v1, off offset:160 ; 4-byte Folded Spill
	s_branch .LBB31_6
.LBB31_3:                               ;   in Loop: Header=BB31_6 Depth=1
	s_or_b64 exec, exec, s[24:25]
	v_add_u32_e32 v2, 6, v2
	v_lshl_add_u64 v[8:9], v[2:3], 1, s[16:17]
	global_store_short_d16_hi v[8:9], v4, off
.LBB31_4:                               ;   in Loop: Header=BB31_6 Depth=1
	s_or_b64 exec, exec, s[6:7]
	scratch_load_dwordx2 v[4:5], off, off offset:128 ; 8-byte Folded Reload
	s_waitcnt vmcnt(0)
	v_add_u32_e32 v2, s33, v4
	v_add_u32_e32 v4, 7, v2
	v_cmp_le_u32_e32 vcc, s11, v2
	v_cmp_gt_u32_e64 s[6:7], s11, v4
	v_mov_b32_e32 v4, s28
	s_or_b64 vcc, vcc, s[6:7]
	v_cndmask_b32_e32 v2, v4, v2, vcc
	scratch_store_dwordx2 off, v[2:3], off offset:128 ; 8-byte Folded Spill
.LBB31_5:                               ;   in Loop: Header=BB31_6 Depth=1
	s_or_b64 exec, exec, s[8:9]
	scratch_load_dwordx2 v[4:5], off, off offset:128 ; 8-byte Folded Reload
	s_waitcnt vmcnt(0)
	v_cmp_le_u32_e32 vcc, s29, v4
	s_or_b64 s[22:23], vcc, s[22:23]
	s_andn2_b64 exec, exec, s[22:23]
	s_cbranch_execz .LBB31_137
.LBB31_6:                               ; =>This Loop Header: Depth=1
                                        ;     Child Loop BB31_10 Depth 2
                                        ;       Child Loop BB31_15 Depth 3
	s_and_b64 vcc, exec, s[4:5]
	v_mov_b32_e32 v17, v3
	v_mov_b32_e32 v16, v3
	;; [unrolled: 1-line block ×100, first 2 shown]
	scratch_store_dwordx4 off, v[22:25], off ; 16-byte Folded Spill
	scratch_store_dwordx4 off, v[22:25], off offset:16 ; 16-byte Folded Spill
	scratch_store_dwordx4 off, v[26:29], off offset:32 ; 16-byte Folded Spill
	s_cbranch_vccnz .LBB31_21
; %bb.7:                                ;   in Loop: Header=BB31_6 Depth=1
	scratch_load_dwordx2 v[4:5], off, off offset:128 ; 8-byte Folded Reload
	v_mov_b32_e32 v60, 0
	s_mov_b32 s38, 0
	s_mov_b32 s39, 0
	v_mov_b32_e32 v61, v60
	v_mov_b32_e32 v62, v60
	;; [unrolled: 1-line block ×76, first 2 shown]
	s_waitcnt vmcnt(0)
	v_mov_b32_e32 v2, v4
	v_cmp_gt_u32_e64 s[6:7], s11, v2
	v_mul_lo_u32 v0, v2, s10
	v_mov_b32_e32 v33, v60
	v_mov_b32_e32 v34, v60
	;; [unrolled: 1-line block ×23, first 2 shown]
	scratch_store_dword off, v0, off offset:156 ; 4-byte Folded Spill
	scratch_store_dwordx4 off, v[14:17], off offset:32 ; 16-byte Folded Spill
	scratch_store_dwordx4 off, v[14:17], off offset:16 ; 16-byte Folded Spill
	scratch_store_dwordx4 off, v[14:17], off ; 16-byte Folded Spill
	s_branch .LBB31_10
.LBB31_8:                               ;   in Loop: Header=BB31_10 Depth=2
	s_or_b64 exec, exec, s[24:25]
.LBB31_9:                               ;   in Loop: Header=BB31_10 Depth=2
	s_or_b64 exec, exec, s[8:9]
	s_addk_i32 s39, 0x200
	s_cmp_ge_u32 s39, s10
	s_cbranch_scc1 .LBB31_21
.LBB31_10:                              ;   Parent Loop BB31_6 Depth=1
                                        ; =>  This Loop Header: Depth=2
                                        ;       Child Loop BB31_15 Depth 3
	s_cmp_eq_u32 s39, 0
	s_cselect_b64 s[8:9], -1, 0
	s_add_i32 s24, s38, s30
	s_cmp_eq_u32 s39, s24
	s_cselect_b64 s[26:27], -1, 0
	s_or_b64 s[26:27], s[8:9], s[26:27]
	s_andn2_b64 vcc, exec, s[26:27]
	s_cbranch_vccz .LBB31_12
; %bb.11:                               ;   in Loop: Header=BB31_10 Depth=2
	s_and_saveexec_b64 s[8:9], s[6:7]
	s_cbranch_execz .LBB31_9
	s_branch .LBB31_19
.LBB31_12:                              ;   in Loop: Header=BB31_10 Depth=2
	s_and_b64 s[8:9], s[8:9], exec
	s_cselect_b32 s38, s38, s24
	s_andn2_b64 vcc, exec, s[0:1]
	s_waitcnt lgkmcnt(0)
	s_barrier
	s_cbranch_vccnz .LBB31_18
; %bb.13:                               ;   in Loop: Header=BB31_10 Depth=2
	scratch_load_dword v0, off, off offset:140 ; 4-byte Folded Reload
	scratch_load_dwordx2 v[8:9], off, off offset:144 ; 8-byte Folded Reload
	scratch_load_dword v114, off, off offset:136 ; 4-byte Folded Reload
	v_add_u32_e32 v113, s38, v12
	s_mov_b32 s40, 0
	s_mov_b64 s[24:25], 0
                                        ; implicit-def: $sgpr26_sgpr27
	s_waitcnt vmcnt(2)
	v_add_u32_e32 v4, s38, v0
	scratch_load_dword v0, off, off offset:152 ; 4-byte Folded Reload
	s_waitcnt vmcnt(2)
	v_add_u32_e32 v5, s38, v8
	s_waitcnt vmcnt(0)
	v_add_u32_e32 v112, s38, v0
	s_branch .LBB31_15
.LBB31_14:                              ;   in Loop: Header=BB31_15 Depth=3
	s_or_b64 exec, exec, s[8:9]
	s_and_b64 s[8:9], exec, s[26:27]
	s_or_b64 s[24:25], s[8:9], s[24:25]
	s_andn2_b64 exec, exec, s[24:25]
	s_cbranch_execz .LBB31_17
.LBB31_15:                              ;   Parent Loop BB31_6 Depth=1
                                        ;     Parent Loop BB31_10 Depth=2
                                        ; =>    This Inner Loop Header: Depth=3
	v_add_u32_e32 v8, s40, v12
	v_add_u32_e32 v2, s40, v113
	v_cmp_gt_u32_e32 vcc, s10, v2
	v_cmp_gt_u32_e64 s[8:9], s30, v8
	s_and_b64 s[42:43], vcc, s[8:9]
	s_or_b64 s[26:27], s[26:27], exec
	s_and_saveexec_b64 s[8:9], s[42:43]
	s_cbranch_execz .LBB31_14
; %bb.16:                               ;   in Loop: Header=BB31_15 Depth=3
	v_lshl_add_u64 v[8:9], v[2:3], 1, s[14:15]
	global_load_dwordx4 v[116:119], v[8:9], off
	v_add_u32_e32 v2, s40, v112
	v_lshl_add_u64 v[8:9], v[2:3], 1, s[14:15]
	v_add_u32_e32 v2, v114, v1
	s_waitcnt vmcnt(0)
	ds_write_b128 v114, v[116:119]
	global_load_dwordx4 v[116:119], v[8:9], off
	s_waitcnt vmcnt(0)
	ds_write2_b64 v2, v[116:117], v[118:119] offset1:1
	v_add_u32_e32 v2, s40, v4
	v_lshl_add_u64 v[8:9], v[2:3], 1, s[14:15]
	global_load_dwordx4 v[116:119], v[8:9], off
	v_add_u32_e32 v2, v114, v7
	s_waitcnt vmcnt(0)
	ds_write2_b32 v2, v116, v117 offset1:1
	ds_write2_b32 v2, v118, v119 offset0:2 offset1:3
	v_add_u32_e32 v2, s40, v5
	v_lshl_add_u64 v[8:9], v[2:3], 1, s[14:15]
	global_load_dwordx4 v[116:119], v[8:9], off
	s_add_i32 s40, s40, s31
	s_cmp_ge_u32 s40, s30
	s_cselect_b64 s[42:43], -1, 0
	s_andn2_b64 s[26:27], s[26:27], exec
	s_and_b64 s[42:43], s[42:43], exec
	v_add_u32_e32 v2, v114, v6
	v_add_u32_e32 v114, s34, v114
	s_or_b64 s[26:27], s[26:27], s[42:43]
	s_waitcnt vmcnt(0)
	ds_write2_b64 v2, v[116:117], v[118:119] offset1:1
	s_branch .LBB31_14
.LBB31_17:                              ;   in Loop: Header=BB31_10 Depth=2
	s_or_b64 exec, exec, s[24:25]
.LBB31_18:                              ;   in Loop: Header=BB31_10 Depth=2
	s_waitcnt lgkmcnt(0)
	s_barrier
	s_and_saveexec_b64 s[8:9], s[6:7]
	s_cbranch_execz .LBB31_9
.LBB31_19:                              ;   in Loop: Header=BB31_10 Depth=2
	v_add_u32_e32 v4, s39, v10
	v_cmp_gt_u32_e32 vcc, s10, v4
	s_and_saveexec_b64 s[24:25], vcc
	s_cbranch_execz .LBB31_8
; %bb.20:                               ;   in Loop: Header=BB31_10 Depth=2
	scratch_load_dword v0, off, off offset:156 ; 4-byte Folded Reload
	s_waitcnt vmcnt(1)
	v_mov_b32_e32 v1, v7
	scratch_store_dwordx4 off, v[124:127], off offset:96 ; 16-byte Folded Spill
	scratch_store_dwordx4 off, v[120:123], off offset:80 ; 16-byte Folded Spill
	v_mov_b32_e32 v7, v6
	v_mov_b32_e32 v6, v10
	scratch_store_dwordx4 off, v[14:17], off offset:112 ; 16-byte Folded Spill
	s_waitcnt vmcnt(3)
	v_add_u32_e32 v2, v4, v0
	s_waitcnt lgkmcnt(0)
	v_lshl_add_u64 v[8:9], v[2:3], 1, s[12:13]
	global_load_dwordx4 v[112:115], v[8:9], off nt
	v_subrev_u32_e32 v2, s38, v4
	v_lshlrev_b32_e32 v2, 1, v2
	v_lshl_add_u64 v[4:5], s[18:19], 1, v[8:9]
	global_load_dwordx4 v[116:119], v[4:5], off nt
	v_add_u32_e32 v8, s35, v2
	ds_read_b128 v[124:127], v2
	ds_read_b128 v[120:123], v8
	v_add_u32_e32 v2, s35, v8
	ds_read_b128 v[8:11], v2
	v_mov_b32_e32 v0, v12
	v_add_u32_e32 v12, s35, v2
	ds_read_b128 v[12:15], v12
	v_lshl_add_u64 v[4:5], v[4:5], 0, s[20:21]
	s_waitcnt vmcnt(1) lgkmcnt(3)
	v_mfma_f32_4x4x4_16b_bf16 v[108:111], v[124:125], v[112:113], v[108:111]
	s_waitcnt lgkmcnt(2)
	v_mfma_f32_4x4x4_16b_bf16 v[80:83], v[120:121], v[112:113], v[80:83]
	s_waitcnt lgkmcnt(1)
	v_mfma_f32_4x4x4_16b_bf16 v[52:55], v[8:9], v[112:113], v[26:29]
	v_mfma_f32_4x4x4_16b_bf16 v[28:31], v[126:127], v[114:115], v[108:111]
	s_waitcnt lgkmcnt(0)
	v_mfma_f32_4x4x4_16b_bf16 v[24:27], v[12:13], v[112:113], v[22:25]
	v_mfma_f32_4x4x4_16b_bf16 v[108:111], v[10:11], v[114:115], v[52:55]
	s_nop 1
	scratch_store_dwordx4 off, v[28:31], off offset:48 ; 16-byte Folded Spill
	v_mov_b64_e32 v[54:55], v[20:21]
	v_mov_b64_e32 v[52:53], v[18:19]
	v_mfma_f32_4x4x4_16b_bf16 v[28:31], v[122:123], v[114:115], v[80:83]
	v_lshl_add_u64 v[20:21], v[4:5], 0, s[20:21]
	v_mfma_f32_4x4x4_16b_bf16 v[80:83], v[14:15], v[114:115], v[24:27]
	s_waitcnt vmcnt(1)
	v_mfma_f32_4x4x4_16b_bf16 v[76:79], v[120:121], v[116:117], v[76:79]
	s_nop 0
	scratch_store_dwordx4 off, v[28:31], off offset:64 ; 16-byte Folded Spill
	global_load_dwordx4 v[112:115], v[4:5], off nt
	global_load_dwordx4 v[16:19], v[20:21], off nt
	v_lshl_add_u64 v[4:5], v[20:21], 0, s[20:21]
	v_lshl_add_u64 v[28:29], v[4:5], 0, s[20:21]
	global_load_dwordx4 v[20:23], v[4:5], off nt
	global_load_dwordx4 v[24:27], v[28:29], off nt
	v_lshl_add_u64 v[4:5], v[28:29], 0, s[20:21]
	global_load_dwordx4 v[28:31], v[4:5], off nt
	v_mfma_f32_4x4x4_16b_bf16 v[76:79], v[122:123], v[118:119], v[76:79]
	v_mfma_f32_4x4x4_16b_bf16 v[48:51], v[8:9], v[116:117], v[48:51]
	;; [unrolled: 1-line block ×3, first 2 shown]
	s_nop 0
	v_mfma_f32_4x4x4_16b_bf16 v[48:51], v[10:11], v[118:119], v[48:51]
	v_mfma_f32_4x4x4_16b_bf16 v[104:107], v[126:127], v[118:119], v[104:107]
	s_waitcnt vmcnt(4)
	v_mfma_f32_4x4x4_16b_bf16 v[72:75], v[120:121], v[112:113], v[72:75]
	s_waitcnt vmcnt(3)
	;; [unrolled: 2-line block ×5, first 2 shown]
	v_mfma_f32_4x4x4_16b_bf16 v[56:59], v[120:121], v[28:29], v[56:59]
	v_mfma_f32_4x4x4_16b_bf16 v[72:75], v[122:123], v[114:115], v[72:75]
	;; [unrolled: 1-line block ×6, first 2 shown]
	scratch_load_dwordx4 v[120:123], off, off offset:32 ; 16-byte Folded Reload
	v_mfma_f32_4x4x4_16b_bf16 v[44:47], v[8:9], v[112:113], v[44:47]
	v_mfma_f32_4x4x4_16b_bf16 v[40:43], v[8:9], v[16:17], v[40:43]
	;; [unrolled: 1-line block ×18, first 2 shown]
	s_waitcnt vmcnt(0)
	v_mfma_f32_4x4x4_16b_bf16 v[120:123], v[8:9], v[28:29], v[120:123]
	s_nop 1
	v_mfma_f32_4x4x4_16b_bf16 v[8:11], v[10:11], v[30:31], v[120:123]
	s_nop 4
	scratch_store_dwordx4 off, v[8:11], off offset:32 ; 16-byte Folded Spill
	scratch_load_dwordx4 v[8:11], off, off offset:16 ; 16-byte Folded Reload
	s_waitcnt vmcnt(0)
	v_mfma_f32_4x4x4_16b_bf16 v[8:11], v[12:13], v[116:117], v[8:11]
	s_nop 1
	v_mfma_f32_4x4x4_16b_bf16 v[8:11], v[14:15], v[118:119], v[8:11]
	s_nop 4
	scratch_store_dwordx4 off, v[8:11], off offset:16 ; 16-byte Folded Spill
	scratch_load_dwordx4 v[8:11], off, off  ; 16-byte Folded Reload
	s_waitcnt vmcnt(0)
	v_mfma_f32_4x4x4_16b_bf16 v[8:11], v[12:13], v[112:113], v[8:11]
	s_nop 1
	v_mfma_f32_4x4x4_16b_bf16 v[8:11], v[14:15], v[114:115], v[8:11]
	s_nop 4
	scratch_store_dwordx4 off, v[8:11], off ; 16-byte Folded Spill
	scratch_load_dwordx4 v[8:11], off, off offset:96 ; 16-byte Folded Reload
	s_waitcnt vmcnt(0)
	v_mfma_f32_4x4x4_16b_bf16 v[8:11], v[12:13], v[16:17], v[8:11]
	s_nop 1
	v_mfma_f32_4x4x4_16b_bf16 v[124:127], v[14:15], v[18:19], v[8:11]
	s_nop 1
	scratch_load_dwordx4 v[8:11], off, off offset:80 ; 16-byte Folded Reload
	s_waitcnt vmcnt(0)
	v_mfma_f32_4x4x4_16b_bf16 v[8:11], v[12:13], v[20:21], v[8:11]
	s_nop 1
	v_mfma_f32_4x4x4_16b_bf16 v[120:123], v[14:15], v[22:23], v[8:11]
	v_mfma_f32_4x4x4_16b_bf16 v[8:11], v[12:13], v[24:25], v[52:55]
	v_mov_b64_e32 v[22:23], v[80:81]
	v_mov_b64_e32 v[24:25], v[82:83]
	v_mfma_f32_4x4x4_16b_bf16 v[18:21], v[14:15], v[26:27], v[8:11]
	scratch_load_dwordx4 v[80:83], off, off offset:64 ; 16-byte Folded Reload
	s_nop 0
	scratch_load_dwordx4 v[8:11], off, off offset:112 ; 16-byte Folded Reload
	s_waitcnt vmcnt(0)
	v_mfma_f32_4x4x4_16b_bf16 v[8:11], v[12:13], v[28:29], v[8:11]
	v_mov_b64_e32 v[26:27], v[108:109]
	s_nop 0
	v_mfma_f32_4x4x4_16b_bf16 v[14:17], v[14:15], v[30:31], v[8:11]
	v_mov_b64_e32 v[28:29], v[110:111]
	scratch_load_dwordx4 v[108:111], off, off offset:48 ; 16-byte Folded Reload
	v_mov_b32_e32 v10, v6
	v_mov_b32_e32 v6, v7
	;; [unrolled: 1-line block ×3, first 2 shown]
	scratch_load_dword v1, off, off offset:160 ; 4-byte Folded Reload
	v_mov_b32_e32 v12, v0
	s_branch .LBB31_8
.LBB31_21:                              ;   in Loop: Header=BB31_6 Depth=1
	scratch_load_dwordx2 v[4:5], off, off offset:128 ; 8-byte Folded Reload
	s_waitcnt vmcnt(0)
	v_cmp_le_u32_e32 vcc, s11, v4
	s_and_saveexec_b64 s[6:7], vcc
	s_xor_b64 s[6:7], exec, s[6:7]
	s_cbranch_execz .LBB31_23
; %bb.22:                               ;   in Loop: Header=BB31_6 Depth=1
	scratch_load_dwordx2 v[4:5], off, off offset:128 ; 8-byte Folded Reload
                                        ; implicit-def: $vgpr35
                                        ; implicit-def: $vgpr39
                                        ; implicit-def: $vgpr43
                                        ; implicit-def: $vgpr47
                                        ; implicit-def: $vgpr51
                                        ; implicit-def: $vgpr29
                                        ; implicit-def: $vgpr59
                                        ; implicit-def: $vgpr111
                                        ; implicit-def: $vgpr107
                                        ; implicit-def: $vgpr103
                                        ; implicit-def: $vgpr99
                                        ; implicit-def: $vgpr95
                                        ; implicit-def: $vgpr91
                                        ; implicit-def: $vgpr87
                                        ; implicit-def: $vgpr83
                                        ; implicit-def: $vgpr79
                                        ; implicit-def: $vgpr75
                                        ; implicit-def: $vgpr71
                                        ; implicit-def: $vgpr67
                                        ; implicit-def: $vgpr63
	s_waitcnt vmcnt(0)
	v_add_u32_e32 v4, s33, v4
	scratch_store_dwordx2 off, v[4:5], off offset:128 ; 8-byte Folded Spill
                                        ; implicit-def: $vgpr17
                                        ; implicit-def: $vgpr21
                                        ; implicit-def: $vgpr123
                                        ; implicit-def: $vgpr127
                                        ; implicit-def: $vgpr5
	scratch_store_dwordx4 off, v[2:5], off  ; 16-byte Folded Spill
                                        ; implicit-def: $vgpr5
	scratch_store_dwordx4 off, v[2:5], off offset:16 ; 16-byte Folded Spill
                                        ; implicit-def: $vgpr25
                                        ; implicit-def: $vgpr5
	scratch_store_dwordx4 off, v[2:5], off offset:32 ; 16-byte Folded Spill
.LBB31_23:                              ;   in Loop: Header=BB31_6 Depth=1
	s_andn2_saveexec_b64 s[8:9], s[6:7]
	s_cbranch_execz .LBB31_5
; %bb.24:                               ;   in Loop: Header=BB31_6 Depth=1
	;;#ASMSTART
	s_nop 0
	v_add_f32 v26, v27, v26 row_shl:1 bound_ctrl:0 
	;;#ASMEND
	;;#ASMSTART
	s_nop 0
	v_add_f32 v22, v23, v22 row_shl:1 bound_ctrl:0 
	;;#ASMEND
	;; [unrolled: 4-line block ×6, first 2 shown]
	s_nop 0
	;;#ASMSTART
	s_nop 0
	v_add_f32 v26, v28, v26 row_shl:2 bound_ctrl:0 
	;;#ASMEND
	;;#ASMSTART
	s_nop 0
	v_add_f32 v22, v24, v22 row_shl:2 bound_ctrl:0 
	;;#ASMEND
	;; [unrolled: 4-line block ×6, first 2 shown]
	s_nop 0
	;;#ASMSTART
	s_nop 0
	v_add_f32 v26, v29, v26 row_shl:3 bound_ctrl:0 
	;;#ASMEND
	;;#ASMSTART
	s_nop 0
	v_add_f32 v22, v25, v22 row_shl:3 bound_ctrl:0 
	;;#ASMEND
	;; [unrolled: 4-line block ×3, first 2 shown]
	scratch_load_dwordx4 v[50:53], off, off offset:32 ; 16-byte Folded Reload
	;;#ASMSTART
	s_nop 0
	v_add_f32 v26, v26, v26 row_shl:4 bound_ctrl:0 
	;;#ASMEND
	;;#ASMSTART
	s_nop 0
	v_add_f32 v22, v22, v22 row_shl:4 bound_ctrl:0 
	;;#ASMEND
	;; [unrolled: 4-line block ×6, first 2 shown]
	s_nop 0
	;;#ASMSTART
	s_nop 0
	v_add_f32 v26, v26, v26 row_shl:8 bound_ctrl:0 
	;;#ASMEND
	;;#ASMSTART
	s_nop 0
	v_add_f32 v22, v22, v22 row_shl:8 bound_ctrl:0 
	;;#ASMEND
	;;#ASMSTART
	s_nop 0
	v_add_f32 v68, v69, v68 row_shl:1 bound_ctrl:0 
	;;#ASMEND
	;;#ASMSTART
	s_nop 0
	v_add_f32 v64, v65, v64 row_shl:1 bound_ctrl:0 
	;;#ASMEND
	;;#ASMSTART
	s_nop 0
	v_add_f32 v60, v61, v60 row_shl:1 bound_ctrl:0 
	;;#ASMEND
	;;#ASMSTART
	s_nop 0
	v_add_f32 v56, v57, v56 row_shl:1 bound_ctrl:0 
	;;#ASMEND
	s_nop 0
	;;#ASMSTART
	s_nop 0
	v_mov_b32 v26, v26 row_shr:15 bound_ctrl:0 
	;;#ASMEND
	;;#ASMSTART
	s_nop 0
	v_mov_b32 v22, v22 row_shr:15 bound_ctrl:0 
	;;#ASMEND
	;;#ASMSTART
	s_nop 0
	v_add_f32 v44, v45, v44 row_shl:1 bound_ctrl:0 
	;;#ASMEND
	;;#ASMSTART
	s_nop 0
	v_add_f32 v40, v41, v40 row_shl:1 bound_ctrl:0 
	;; [unrolled: 4-line block ×4, first 2 shown]
	;;#ASMEND
	s_nop 0
	;;#ASMSTART
	s_nop 0
	v_add_f32 v26, v26, v26 row_bcast:15 bound_ctrl:0
	;;#ASMEND
	;;#ASMSTART
	s_nop 0
	v_add_f32 v22, v22, v22 row_bcast:15 bound_ctrl:0
	;;#ASMEND
	s_waitcnt vmcnt(0)
	;;#ASMSTART
	s_nop 0
	v_add_f32 v50, v51, v50 row_shl:1 bound_ctrl:0 
	;;#ASMEND
	;;#ASMSTART
	s_nop 0
	v_add_f32 v124, v125, v124 row_shl:1 bound_ctrl:0 
	;;#ASMEND
	;; [unrolled: 4-line block ×4, first 2 shown]
	;;#ASMSTART
	s_nop 0
	v_add_f32 v26, v26, v26 row_bcast:31 bound_ctrl:0
	;;#ASMEND
	;;#ASMSTART
	s_nop 0
	v_add_f32 v22, v22, v22 row_bcast:31 bound_ctrl:0
	;;#ASMEND
	;;#ASMSTART
	s_nop 0
	v_add_f32 v14, v15, v14 row_shl:1 bound_ctrl:0 
	;;#ASMEND
	;;#ASMSTART
	s_nop 0
	v_add_f32 v108, v110, v108 row_shl:2 bound_ctrl:0 
	;; [unrolled: 4-line block ×4, first 2 shown]
	;;#ASMEND
	s_nop 0
	v_mov_b32_e32 v4, v26
	v_mov_b32_e32 v0, v22
	scratch_load_dwordx4 v[26:29], off, off offset:16 ; 16-byte Folded Reload
	scratch_load_dwordx4 v[22:25], off, off ; 16-byte Folded Reload
	s_waitcnt vmcnt(1)
	;;#ASMSTART
	s_nop 0
	v_add_f32 v26, v27, v26 row_shl:1 bound_ctrl:0 
	;;#ASMEND
	s_waitcnt vmcnt(0)
	;;#ASMSTART
	s_nop 0
	v_add_f32 v22, v23, v22 row_shl:1 bound_ctrl:0 
	;;#ASMEND
	;;#ASMSTART
	s_nop 0
	v_add_f32 v96, v98, v96 row_shl:2 bound_ctrl:0 
	;;#ASMEND
	;; [unrolled: 4-line block ×18, first 2 shown]
	s_nop 0
	;;#ASMSTART
	s_nop 0
	v_add_f32 v22, v24, v22 row_shl:2 bound_ctrl:0 
	;;#ASMEND
	;;#ASMSTART
	s_nop 0
	v_add_f32 v124, v126, v124 row_shl:2 bound_ctrl:0 
	;;#ASMEND
	;; [unrolled: 4-line block ×25, first 2 shown]
	s_nop 0
	;;#ASMSTART
	s_nop 0
	v_add_f32 v22, v25, v22 row_shl:3 bound_ctrl:0 
	;;#ASMEND
	;;#ASMSTART
	s_nop 0
	v_add_f32 v124, v127, v124 row_shl:3 bound_ctrl:0 
	;;#ASMEND
	;; [unrolled: 4-line block ×26, first 2 shown]
	s_nop 0
	;;#ASMSTART
	s_nop 0
	v_add_f32 v22, v22, v22 row_shl:4 bound_ctrl:0 
	;;#ASMEND
	;;#ASMSTART
	s_nop 0
	v_add_f32 v124, v124, v124 row_shl:4 bound_ctrl:0 
	;;#ASMEND
	;; [unrolled: 4-line block ×26, first 2 shown]
	s_nop 0
	;;#ASMSTART
	s_nop 0
	v_add_f32 v22, v22, v22 row_shl:8 bound_ctrl:0 
	;;#ASMEND
	;;#ASMSTART
	s_nop 0
	v_add_f32 v124, v124, v124 row_shl:8 bound_ctrl:0 
	;;#ASMEND
	;; [unrolled: 4-line block ×5, first 2 shown]
	;;#ASMSTART
	s_nop 0
	v_mov_b32 v108, v108 row_shr:15 bound_ctrl:0 
	;;#ASMEND
	;;#ASMSTART
	s_nop 0
	v_mov_b32 v104, v104 row_shr:15 bound_ctrl:0 
	;;#ASMEND
	;; [unrolled: 4-line block ×21, first 2 shown]
	s_nop 0
	;;#ASMSTART
	s_nop 0
	v_mov_b32 v22, v22 row_shr:15 bound_ctrl:0 
	;;#ASMEND
	;;#ASMSTART
	s_nop 0
	v_mov_b32 v124, v124 row_shr:15 bound_ctrl:0 
	;;#ASMEND
	;;#ASMSTART
	s_nop 0
	v_mov_b32 v120, v120 row_shr:15 bound_ctrl:0 
	;;#ASMEND
	;;#ASMSTART
	s_nop 0
	v_mov_b32 v18, v18 row_shr:15 bound_ctrl:0 
	;;#ASMEND
	;;#ASMSTART
	s_nop 0
	v_mov_b32 v14, v14 row_shr:15 bound_ctrl:0 
	;;#ASMEND
	;;#ASMSTART
	s_nop 0
	v_add_f32 v108, v108, v108 row_bcast:15 bound_ctrl:0
	;;#ASMEND
	;;#ASMSTART
	s_nop 0
	v_add_f32 v104, v104, v104 row_bcast:15 bound_ctrl:0
	;;#ASMEND
	;; [unrolled: 4-line block ×21, first 2 shown]
	s_nop 0
	;;#ASMSTART
	s_nop 0
	v_add_f32 v22, v22, v22 row_bcast:15 bound_ctrl:0
	;;#ASMEND
	;;#ASMSTART
	s_nop 0
	v_add_f32 v124, v124, v124 row_bcast:15 bound_ctrl:0
	;;#ASMEND
	;; [unrolled: 4-line block ×26, first 2 shown]
	s_nop 0
	;;#ASMSTART
	s_nop 0
	v_add_f32 v22, v22, v22 row_bcast:31 bound_ctrl:0
	;;#ASMEND
	;;#ASMSTART
	s_nop 0
	v_add_f32 v124, v124, v124 row_bcast:31 bound_ctrl:0
	;;#ASMEND
	;; [unrolled: 4-line block ×5, first 2 shown]
	s_and_saveexec_b64 s[6:7], s[2:3]
	s_cbranch_execz .LBB31_4
; %bb.25:                               ;   in Loop: Header=BB31_6 Depth=1
	v_and_b32_e32 v2, 0x7f800000, v108
	v_cmp_ne_u32_e32 vcc, s36, v2
                                        ; implicit-def: $vgpr2
	s_and_saveexec_b64 s[24:25], vcc
	s_xor_b64 s[24:25], exec, s[24:25]
; %bb.26:                               ;   in Loop: Header=BB31_6 Depth=1
	v_bfe_u32 v2, v108, 16, 1
	v_add3_u32 v2, v108, v2, s37
                                        ; implicit-def: $vgpr108
; %bb.27:                               ;   in Loop: Header=BB31_6 Depth=1
	s_or_saveexec_b64 s[24:25], s[24:25]
	v_mov_b32_e32 v16, v4
	s_xor_b64 exec, exec, s[24:25]
; %bb.28:                               ;   in Loop: Header=BB31_6 Depth=1
	v_or_b32_e32 v2, 0x10000, v108
	v_cmp_eq_u32_sdwa vcc, v108, v3 src0_sel:WORD_0 src1_sel:DWORD
	s_nop 1
	v_cndmask_b32_e32 v2, v2, v108, vcc
; %bb.29:                               ;   in Loop: Header=BB31_6 Depth=1
	s_or_b64 exec, exec, s[24:25]
	scratch_load_dwordx2 v[4:5], off, off offset:128 ; 8-byte Folded Reload
	s_waitcnt vmcnt(0)
	v_mov_b32_e32 v5, v3
	v_mov_b32_e32 v8, v4
	s_waitcnt lgkmcnt(0)
	v_lshl_add_u64 v[4:5], v[4:5], 1, s[16:17]
	global_store_short_d16_hi v[4:5], v2, off
	v_and_b32_e32 v2, 0x7f800000, v104
	v_cmp_ne_u32_e32 vcc, s36, v2
	scratch_store_dwordx2 off, v[8:9], off offset:128 ; 8-byte Folded Spill
                                        ; implicit-def: $vgpr2
	s_and_saveexec_b64 s[24:25], vcc
	s_xor_b64 s[24:25], exec, s[24:25]
; %bb.30:                               ;   in Loop: Header=BB31_6 Depth=1
	v_bfe_u32 v2, v104, 16, 1
	v_add3_u32 v2, v104, v2, s37
                                        ; implicit-def: $vgpr104
; %bb.31:                               ;   in Loop: Header=BB31_6 Depth=1
	s_andn2_saveexec_b64 s[24:25], s[24:25]
; %bb.32:                               ;   in Loop: Header=BB31_6 Depth=1
	v_or_b32_e32 v2, 0x10000, v104
	v_cmp_eq_u32_sdwa vcc, v104, v3 src0_sel:WORD_0 src1_sel:DWORD
	s_nop 1
	v_cndmask_b32_e32 v2, v2, v104, vcc
; %bb.33:                               ;   in Loop: Header=BB31_6 Depth=1
	s_or_b64 exec, exec, s[24:25]
	global_store_short_d16_hi v[4:5], v2, off offset:2
	v_and_b32_e32 v2, 0x7f800000, v100
	v_cmp_ne_u32_e32 vcc, s36, v2
                                        ; implicit-def: $vgpr4
	s_and_saveexec_b64 s[24:25], vcc
	s_xor_b64 s[24:25], exec, s[24:25]
; %bb.34:                               ;   in Loop: Header=BB31_6 Depth=1
	v_bfe_u32 v2, v100, 16, 1
	v_add3_u32 v4, v100, v2, s37
                                        ; implicit-def: $vgpr100
; %bb.35:                               ;   in Loop: Header=BB31_6 Depth=1
	s_andn2_saveexec_b64 s[24:25], s[24:25]
; %bb.36:                               ;   in Loop: Header=BB31_6 Depth=1
	v_or_b32_e32 v2, 0x10000, v100
	v_cmp_eq_u32_sdwa vcc, v100, v3 src0_sel:WORD_0 src1_sel:DWORD
	s_nop 1
	v_cndmask_b32_e32 v4, v2, v100, vcc
; %bb.37:                               ;   in Loop: Header=BB31_6 Depth=1
	s_or_b64 exec, exec, s[24:25]
	scratch_load_dwordx2 v[8:9], off, off offset:128 ; 8-byte Folded Reload
	s_waitcnt vmcnt(0)
	v_add_u32_e32 v2, 2, v8
	v_lshl_add_u64 v[8:9], v[2:3], 1, s[16:17]
	v_and_b32_e32 v2, 0x7f800000, v96
	v_cmp_ne_u32_e32 vcc, s36, v2
	global_store_short_d16_hi v[8:9], v4, off
                                        ; implicit-def: $vgpr4
	s_and_saveexec_b64 s[24:25], vcc
	s_xor_b64 s[24:25], exec, s[24:25]
; %bb.38:                               ;   in Loop: Header=BB31_6 Depth=1
	v_bfe_u32 v2, v96, 16, 1
	v_add3_u32 v4, v96, v2, s37
                                        ; implicit-def: $vgpr96
; %bb.39:                               ;   in Loop: Header=BB31_6 Depth=1
	s_andn2_saveexec_b64 s[24:25], s[24:25]
; %bb.40:                               ;   in Loop: Header=BB31_6 Depth=1
	v_or_b32_e32 v2, 0x10000, v96
	v_cmp_eq_u32_sdwa vcc, v96, v3 src0_sel:WORD_0 src1_sel:DWORD
	s_nop 1
	v_cndmask_b32_e32 v4, v2, v96, vcc
; %bb.41:                               ;   in Loop: Header=BB31_6 Depth=1
	s_or_b64 exec, exec, s[24:25]
	scratch_load_dwordx2 v[8:9], off, off offset:128 ; 8-byte Folded Reload
	s_waitcnt vmcnt(0)
	v_add_u32_e32 v2, 3, v8
	v_lshl_add_u64 v[8:9], v[2:3], 1, s[16:17]
	v_and_b32_e32 v2, 0x7f800000, v92
	v_cmp_ne_u32_e32 vcc, s36, v2
	global_store_short_d16_hi v[8:9], v4, off
                                        ; implicit-def: $vgpr4
	s_and_saveexec_b64 s[24:25], vcc
	s_xor_b64 s[24:25], exec, s[24:25]
; %bb.42:                               ;   in Loop: Header=BB31_6 Depth=1
	v_bfe_u32 v2, v92, 16, 1
	v_add3_u32 v4, v92, v2, s37
                                        ; implicit-def: $vgpr92
; %bb.43:                               ;   in Loop: Header=BB31_6 Depth=1
	s_andn2_saveexec_b64 s[24:25], s[24:25]
; %bb.44:                               ;   in Loop: Header=BB31_6 Depth=1
	v_or_b32_e32 v2, 0x10000, v92
	v_cmp_eq_u32_sdwa vcc, v92, v3 src0_sel:WORD_0 src1_sel:DWORD
	s_nop 1
	v_cndmask_b32_e32 v4, v2, v92, vcc
; %bb.45:                               ;   in Loop: Header=BB31_6 Depth=1
	s_or_b64 exec, exec, s[24:25]
	scratch_load_dwordx2 v[8:9], off, off offset:128 ; 8-byte Folded Reload
	s_waitcnt vmcnt(0)
	v_add_u32_e32 v2, 4, v8
	v_lshl_add_u64 v[8:9], v[2:3], 1, s[16:17]
	v_and_b32_e32 v2, 0x7f800000, v88
	v_cmp_ne_u32_e32 vcc, s36, v2
	global_store_short_d16_hi v[8:9], v4, off
                                        ; implicit-def: $vgpr4
	s_and_saveexec_b64 s[24:25], vcc
	s_xor_b64 s[24:25], exec, s[24:25]
; %bb.46:                               ;   in Loop: Header=BB31_6 Depth=1
	v_bfe_u32 v2, v88, 16, 1
	v_add3_u32 v4, v88, v2, s37
                                        ; implicit-def: $vgpr88
; %bb.47:                               ;   in Loop: Header=BB31_6 Depth=1
	s_andn2_saveexec_b64 s[24:25], s[24:25]
; %bb.48:                               ;   in Loop: Header=BB31_6 Depth=1
	v_or_b32_e32 v2, 0x10000, v88
	v_cmp_eq_u32_sdwa vcc, v88, v3 src0_sel:WORD_0 src1_sel:DWORD
	s_nop 1
	v_cndmask_b32_e32 v4, v2, v88, vcc
; %bb.49:                               ;   in Loop: Header=BB31_6 Depth=1
	s_or_b64 exec, exec, s[24:25]
	scratch_load_dwordx2 v[8:9], off, off offset:128 ; 8-byte Folded Reload
	s_waitcnt vmcnt(0)
	v_add_u32_e32 v2, 5, v8
	v_lshl_add_u64 v[8:9], v[2:3], 1, s[16:17]
	v_and_b32_e32 v2, 0x7f800000, v84
	v_cmp_ne_u32_e32 vcc, s36, v2
	global_store_short_d16_hi v[8:9], v4, off
                                        ; implicit-def: $vgpr4
	s_and_saveexec_b64 s[24:25], vcc
	s_xor_b64 s[24:25], exec, s[24:25]
; %bb.50:                               ;   in Loop: Header=BB31_6 Depth=1
	v_bfe_u32 v2, v84, 16, 1
	v_add3_u32 v4, v84, v2, s37
                                        ; implicit-def: $vgpr84
; %bb.51:                               ;   in Loop: Header=BB31_6 Depth=1
	s_andn2_saveexec_b64 s[24:25], s[24:25]
; %bb.52:                               ;   in Loop: Header=BB31_6 Depth=1
	v_or_b32_e32 v2, 0x10000, v84
	v_cmp_eq_u32_sdwa vcc, v84, v3 src0_sel:WORD_0 src1_sel:DWORD
	s_nop 1
	v_cndmask_b32_e32 v4, v2, v84, vcc
; %bb.53:                               ;   in Loop: Header=BB31_6 Depth=1
	s_or_b64 exec, exec, s[24:25]
	scratch_load_dwordx2 v[8:9], off, off offset:128 ; 8-byte Folded Reload
	s_waitcnt vmcnt(0)
	v_add_u32_e32 v2, 6, v8
	v_lshl_add_u64 v[8:9], v[2:3], 1, s[16:17]
	v_and_b32_e32 v2, 0x7f800000, v80
	v_cmp_ne_u32_e32 vcc, s36, v2
	global_store_short_d16_hi v[8:9], v4, off
                                        ; implicit-def: $vgpr4
	s_and_saveexec_b64 s[24:25], vcc
	s_xor_b64 s[24:25], exec, s[24:25]
; %bb.54:                               ;   in Loop: Header=BB31_6 Depth=1
	v_bfe_u32 v2, v80, 16, 1
	v_add3_u32 v4, v80, v2, s37
                                        ; implicit-def: $vgpr80
; %bb.55:                               ;   in Loop: Header=BB31_6 Depth=1
	s_andn2_saveexec_b64 s[24:25], s[24:25]
; %bb.56:                               ;   in Loop: Header=BB31_6 Depth=1
	v_or_b32_e32 v2, 0x10000, v80
	v_cmp_eq_u32_sdwa vcc, v80, v3 src0_sel:WORD_0 src1_sel:DWORD
	s_nop 1
	v_cndmask_b32_e32 v4, v2, v80, vcc
; %bb.57:                               ;   in Loop: Header=BB31_6 Depth=1
	s_or_b64 exec, exec, s[24:25]
	scratch_load_dwordx2 v[8:9], off, off offset:128 ; 8-byte Folded Reload
	s_waitcnt vmcnt(0)
	v_add_u32_e32 v2, s11, v8
	v_lshl_add_u64 v[8:9], v[2:3], 1, s[16:17]
	global_store_short_d16_hi v[8:9], v4, off
	v_and_b32_e32 v4, 0x7f800000, v76
	v_cmp_ne_u32_e32 vcc, s36, v4
                                        ; implicit-def: $vgpr4
	s_and_saveexec_b64 s[24:25], vcc
	s_xor_b64 s[24:25], exec, s[24:25]
; %bb.58:                               ;   in Loop: Header=BB31_6 Depth=1
	v_bfe_u32 v4, v76, 16, 1
	v_add3_u32 v4, v76, v4, s37
                                        ; implicit-def: $vgpr76
; %bb.59:                               ;   in Loop: Header=BB31_6 Depth=1
	s_andn2_saveexec_b64 s[24:25], s[24:25]
; %bb.60:                               ;   in Loop: Header=BB31_6 Depth=1
	v_or_b32_e32 v4, 0x10000, v76
	v_cmp_eq_u32_sdwa vcc, v76, v3 src0_sel:WORD_0 src1_sel:DWORD
	s_nop 1
	v_cndmask_b32_e32 v4, v4, v76, vcc
; %bb.61:                               ;   in Loop: Header=BB31_6 Depth=1
	s_or_b64 exec, exec, s[24:25]
	v_add_u32_e32 v8, 1, v2
	v_mov_b32_e32 v9, v3
	v_lshl_add_u64 v[8:9], v[8:9], 1, s[16:17]
	global_store_short_d16_hi v[8:9], v4, off
	v_and_b32_e32 v4, 0x7f800000, v72
	v_cmp_ne_u32_e32 vcc, s36, v4
                                        ; implicit-def: $vgpr4
	s_and_saveexec_b64 s[24:25], vcc
	s_xor_b64 s[24:25], exec, s[24:25]
; %bb.62:                               ;   in Loop: Header=BB31_6 Depth=1
	v_bfe_u32 v4, v72, 16, 1
	v_add3_u32 v4, v72, v4, s37
                                        ; implicit-def: $vgpr72
; %bb.63:                               ;   in Loop: Header=BB31_6 Depth=1
	s_andn2_saveexec_b64 s[24:25], s[24:25]
; %bb.64:                               ;   in Loop: Header=BB31_6 Depth=1
	v_or_b32_e32 v4, 0x10000, v72
	v_cmp_eq_u32_sdwa vcc, v72, v3 src0_sel:WORD_0 src1_sel:DWORD
	s_nop 1
	v_cndmask_b32_e32 v4, v4, v72, vcc
; %bb.65:                               ;   in Loop: Header=BB31_6 Depth=1
	s_or_b64 exec, exec, s[24:25]
	v_add_u32_e32 v8, 2, v2
	v_mov_b32_e32 v9, v3
	v_lshl_add_u64 v[8:9], v[8:9], 1, s[16:17]
	global_store_short_d16_hi v[8:9], v4, off
	v_and_b32_e32 v4, 0x7f800000, v68
	v_cmp_ne_u32_e32 vcc, s36, v4
                                        ; implicit-def: $vgpr4
	s_and_saveexec_b64 s[24:25], vcc
	s_xor_b64 s[24:25], exec, s[24:25]
; %bb.66:                               ;   in Loop: Header=BB31_6 Depth=1
	v_bfe_u32 v4, v68, 16, 1
	v_add3_u32 v4, v68, v4, s37
                                        ; implicit-def: $vgpr68
; %bb.67:                               ;   in Loop: Header=BB31_6 Depth=1
	s_andn2_saveexec_b64 s[24:25], s[24:25]
; %bb.68:                               ;   in Loop: Header=BB31_6 Depth=1
	v_or_b32_e32 v4, 0x10000, v68
	v_cmp_eq_u32_sdwa vcc, v68, v3 src0_sel:WORD_0 src1_sel:DWORD
	s_nop 1
	v_cndmask_b32_e32 v4, v4, v68, vcc
; %bb.69:                               ;   in Loop: Header=BB31_6 Depth=1
	s_or_b64 exec, exec, s[24:25]
	v_add_u32_e32 v8, 3, v2
	v_mov_b32_e32 v9, v3
	v_lshl_add_u64 v[8:9], v[8:9], 1, s[16:17]
	global_store_short_d16_hi v[8:9], v4, off
	v_and_b32_e32 v4, 0x7f800000, v64
	v_cmp_ne_u32_e32 vcc, s36, v4
                                        ; implicit-def: $vgpr4
	s_and_saveexec_b64 s[24:25], vcc
	s_xor_b64 s[24:25], exec, s[24:25]
; %bb.70:                               ;   in Loop: Header=BB31_6 Depth=1
	v_bfe_u32 v4, v64, 16, 1
	v_add3_u32 v4, v64, v4, s37
                                        ; implicit-def: $vgpr64
; %bb.71:                               ;   in Loop: Header=BB31_6 Depth=1
	s_andn2_saveexec_b64 s[24:25], s[24:25]
; %bb.72:                               ;   in Loop: Header=BB31_6 Depth=1
	v_or_b32_e32 v4, 0x10000, v64
	v_cmp_eq_u32_sdwa vcc, v64, v3 src0_sel:WORD_0 src1_sel:DWORD
	s_nop 1
	v_cndmask_b32_e32 v4, v4, v64, vcc
; %bb.73:                               ;   in Loop: Header=BB31_6 Depth=1
	s_or_b64 exec, exec, s[24:25]
	v_add_u32_e32 v8, 4, v2
	v_mov_b32_e32 v9, v3
	v_lshl_add_u64 v[8:9], v[8:9], 1, s[16:17]
	global_store_short_d16_hi v[8:9], v4, off
	v_and_b32_e32 v4, 0x7f800000, v60
	v_cmp_ne_u32_e32 vcc, s36, v4
                                        ; implicit-def: $vgpr4
	s_and_saveexec_b64 s[24:25], vcc
	s_xor_b64 s[24:25], exec, s[24:25]
; %bb.74:                               ;   in Loop: Header=BB31_6 Depth=1
	v_bfe_u32 v4, v60, 16, 1
	v_add3_u32 v4, v60, v4, s37
                                        ; implicit-def: $vgpr60
; %bb.75:                               ;   in Loop: Header=BB31_6 Depth=1
	s_andn2_saveexec_b64 s[24:25], s[24:25]
; %bb.76:                               ;   in Loop: Header=BB31_6 Depth=1
	v_or_b32_e32 v4, 0x10000, v60
	v_cmp_eq_u32_sdwa vcc, v60, v3 src0_sel:WORD_0 src1_sel:DWORD
	s_nop 1
	v_cndmask_b32_e32 v4, v4, v60, vcc
; %bb.77:                               ;   in Loop: Header=BB31_6 Depth=1
	s_or_b64 exec, exec, s[24:25]
	v_add_u32_e32 v8, 5, v2
	v_mov_b32_e32 v9, v3
	v_lshl_add_u64 v[8:9], v[8:9], 1, s[16:17]
	global_store_short_d16_hi v[8:9], v4, off
	v_and_b32_e32 v4, 0x7f800000, v56
	v_cmp_ne_u32_e32 vcc, s36, v4
                                        ; implicit-def: $vgpr4
	s_and_saveexec_b64 s[24:25], vcc
	s_xor_b64 s[24:25], exec, s[24:25]
; %bb.78:                               ;   in Loop: Header=BB31_6 Depth=1
	v_bfe_u32 v4, v56, 16, 1
	v_add3_u32 v4, v56, v4, s37
                                        ; implicit-def: $vgpr56
; %bb.79:                               ;   in Loop: Header=BB31_6 Depth=1
	s_andn2_saveexec_b64 s[24:25], s[24:25]
; %bb.80:                               ;   in Loop: Header=BB31_6 Depth=1
	v_or_b32_e32 v4, 0x10000, v56
	v_cmp_eq_u32_sdwa vcc, v56, v3 src0_sel:WORD_0 src1_sel:DWORD
	s_nop 1
	v_cndmask_b32_e32 v4, v4, v56, vcc
; %bb.81:                               ;   in Loop: Header=BB31_6 Depth=1
	s_or_b64 exec, exec, s[24:25]
	v_add_u32_e32 v8, 6, v2
	v_mov_b32_e32 v9, v3
	v_lshl_add_u64 v[8:9], v[8:9], 1, s[16:17]
	global_store_short_d16_hi v[8:9], v4, off
	v_and_b32_e32 v4, 0x7f800000, v16
	v_cmp_ne_u32_e32 vcc, s36, v4
                                        ; implicit-def: $vgpr4
	s_and_saveexec_b64 s[24:25], vcc
	s_xor_b64 s[24:25], exec, s[24:25]
; %bb.82:                               ;   in Loop: Header=BB31_6 Depth=1
	v_bfe_u32 v4, v16, 16, 1
	v_add3_u32 v4, v16, v4, s37
                                        ; implicit-def: $vgpr16
; %bb.83:                               ;   in Loop: Header=BB31_6 Depth=1
	s_andn2_saveexec_b64 s[24:25], s[24:25]
; %bb.84:                               ;   in Loop: Header=BB31_6 Depth=1
	v_or_b32_e32 v4, 0x10000, v16
	v_cmp_eq_u32_sdwa vcc, v16, v3 src0_sel:WORD_0 src1_sel:DWORD
	s_nop 1
	v_cndmask_b32_e32 v4, v4, v16, vcc
; %bb.85:                               ;   in Loop: Header=BB31_6 Depth=1
	s_or_b64 exec, exec, s[24:25]
	v_add_u32_e32 v2, s11, v2
	v_lshl_add_u64 v[8:9], v[2:3], 1, s[16:17]
	global_store_short_d16_hi v[8:9], v4, off
	v_and_b32_e32 v4, 0x7f800000, v48
	v_cmp_ne_u32_e32 vcc, s36, v4
                                        ; implicit-def: $vgpr4
	s_and_saveexec_b64 s[24:25], vcc
	s_xor_b64 s[24:25], exec, s[24:25]
; %bb.86:                               ;   in Loop: Header=BB31_6 Depth=1
	v_bfe_u32 v4, v48, 16, 1
	v_add3_u32 v4, v48, v4, s37
                                        ; implicit-def: $vgpr48
; %bb.87:                               ;   in Loop: Header=BB31_6 Depth=1
	s_andn2_saveexec_b64 s[24:25], s[24:25]
; %bb.88:                               ;   in Loop: Header=BB31_6 Depth=1
	v_or_b32_e32 v4, 0x10000, v48
	v_cmp_eq_u32_sdwa vcc, v48, v3 src0_sel:WORD_0 src1_sel:DWORD
	s_nop 1
	v_cndmask_b32_e32 v4, v4, v48, vcc
; %bb.89:                               ;   in Loop: Header=BB31_6 Depth=1
	s_or_b64 exec, exec, s[24:25]
	v_add_u32_e32 v8, 1, v2
	v_mov_b32_e32 v9, v3
	v_lshl_add_u64 v[8:9], v[8:9], 1, s[16:17]
	global_store_short_d16_hi v[8:9], v4, off
	v_and_b32_e32 v4, 0x7f800000, v44
	v_cmp_ne_u32_e32 vcc, s36, v4
                                        ; implicit-def: $vgpr4
	s_and_saveexec_b64 s[24:25], vcc
	s_xor_b64 s[24:25], exec, s[24:25]
; %bb.90:                               ;   in Loop: Header=BB31_6 Depth=1
	v_bfe_u32 v4, v44, 16, 1
	v_add3_u32 v4, v44, v4, s37
                                        ; implicit-def: $vgpr44
; %bb.91:                               ;   in Loop: Header=BB31_6 Depth=1
	s_andn2_saveexec_b64 s[24:25], s[24:25]
; %bb.92:                               ;   in Loop: Header=BB31_6 Depth=1
	v_or_b32_e32 v4, 0x10000, v44
	v_cmp_eq_u32_sdwa vcc, v44, v3 src0_sel:WORD_0 src1_sel:DWORD
	s_nop 1
	v_cndmask_b32_e32 v4, v4, v44, vcc
; %bb.93:                               ;   in Loop: Header=BB31_6 Depth=1
	s_or_b64 exec, exec, s[24:25]
	v_add_u32_e32 v8, 2, v2
	v_mov_b32_e32 v9, v3
	v_lshl_add_u64 v[8:9], v[8:9], 1, s[16:17]
	global_store_short_d16_hi v[8:9], v4, off
	v_and_b32_e32 v4, 0x7f800000, v40
	v_cmp_ne_u32_e32 vcc, s36, v4
                                        ; implicit-def: $vgpr4
	s_and_saveexec_b64 s[24:25], vcc
	s_xor_b64 s[24:25], exec, s[24:25]
; %bb.94:                               ;   in Loop: Header=BB31_6 Depth=1
	v_bfe_u32 v4, v40, 16, 1
	v_add3_u32 v4, v40, v4, s37
                                        ; implicit-def: $vgpr40
; %bb.95:                               ;   in Loop: Header=BB31_6 Depth=1
	s_andn2_saveexec_b64 s[24:25], s[24:25]
; %bb.96:                               ;   in Loop: Header=BB31_6 Depth=1
	v_or_b32_e32 v4, 0x10000, v40
	v_cmp_eq_u32_sdwa vcc, v40, v3 src0_sel:WORD_0 src1_sel:DWORD
	s_nop 1
	v_cndmask_b32_e32 v4, v4, v40, vcc
; %bb.97:                               ;   in Loop: Header=BB31_6 Depth=1
	s_or_b64 exec, exec, s[24:25]
	v_add_u32_e32 v8, 3, v2
	v_mov_b32_e32 v9, v3
	v_lshl_add_u64 v[8:9], v[8:9], 1, s[16:17]
	global_store_short_d16_hi v[8:9], v4, off
	v_and_b32_e32 v4, 0x7f800000, v36
	v_cmp_ne_u32_e32 vcc, s36, v4
                                        ; implicit-def: $vgpr4
	s_and_saveexec_b64 s[24:25], vcc
	s_xor_b64 s[24:25], exec, s[24:25]
; %bb.98:                               ;   in Loop: Header=BB31_6 Depth=1
	v_bfe_u32 v4, v36, 16, 1
	v_add3_u32 v4, v36, v4, s37
                                        ; implicit-def: $vgpr36
; %bb.99:                               ;   in Loop: Header=BB31_6 Depth=1
	s_andn2_saveexec_b64 s[24:25], s[24:25]
; %bb.100:                              ;   in Loop: Header=BB31_6 Depth=1
	v_or_b32_e32 v4, 0x10000, v36
	v_cmp_eq_u32_sdwa vcc, v36, v3 src0_sel:WORD_0 src1_sel:DWORD
	s_nop 1
	v_cndmask_b32_e32 v4, v4, v36, vcc
; %bb.101:                              ;   in Loop: Header=BB31_6 Depth=1
	s_or_b64 exec, exec, s[24:25]
	v_add_u32_e32 v8, 4, v2
	v_mov_b32_e32 v9, v3
	v_lshl_add_u64 v[8:9], v[8:9], 1, s[16:17]
	global_store_short_d16_hi v[8:9], v4, off
	v_and_b32_e32 v4, 0x7f800000, v32
	v_cmp_ne_u32_e32 vcc, s36, v4
                                        ; implicit-def: $vgpr4
	s_and_saveexec_b64 s[24:25], vcc
	s_xor_b64 s[24:25], exec, s[24:25]
; %bb.102:                              ;   in Loop: Header=BB31_6 Depth=1
	v_bfe_u32 v4, v32, 16, 1
	v_add3_u32 v4, v32, v4, s37
                                        ; implicit-def: $vgpr32
; %bb.103:                              ;   in Loop: Header=BB31_6 Depth=1
	s_andn2_saveexec_b64 s[24:25], s[24:25]
; %bb.104:                              ;   in Loop: Header=BB31_6 Depth=1
	v_or_b32_e32 v4, 0x10000, v32
	v_cmp_eq_u32_sdwa vcc, v32, v3 src0_sel:WORD_0 src1_sel:DWORD
	s_nop 1
	v_cndmask_b32_e32 v4, v4, v32, vcc
; %bb.105:                              ;   in Loop: Header=BB31_6 Depth=1
	s_or_b64 exec, exec, s[24:25]
	v_add_u32_e32 v8, 5, v2
	v_mov_b32_e32 v9, v3
	v_lshl_add_u64 v[8:9], v[8:9], 1, s[16:17]
	global_store_short_d16_hi v[8:9], v4, off
	v_and_b32_e32 v4, 0x7f800000, v50
	v_cmp_ne_u32_e32 vcc, s36, v4
                                        ; implicit-def: $vgpr4
	s_and_saveexec_b64 s[24:25], vcc
	s_xor_b64 s[24:25], exec, s[24:25]
; %bb.106:                              ;   in Loop: Header=BB31_6 Depth=1
	v_bfe_u32 v4, v50, 16, 1
	v_add3_u32 v4, v50, v4, s37
                                        ; implicit-def: $vgpr50
; %bb.107:                              ;   in Loop: Header=BB31_6 Depth=1
	s_andn2_saveexec_b64 s[24:25], s[24:25]
; %bb.108:                              ;   in Loop: Header=BB31_6 Depth=1
	v_or_b32_e32 v4, 0x10000, v50
	v_cmp_eq_u32_sdwa vcc, v50, v3 src0_sel:WORD_0 src1_sel:DWORD
	s_nop 1
	v_cndmask_b32_e32 v4, v4, v50, vcc
; %bb.109:                              ;   in Loop: Header=BB31_6 Depth=1
	s_or_b64 exec, exec, s[24:25]
	v_add_u32_e32 v8, 6, v2
	v_mov_b32_e32 v9, v3
	v_lshl_add_u64 v[8:9], v[8:9], 1, s[16:17]
	global_store_short_d16_hi v[8:9], v4, off
	v_and_b32_e32 v4, 0x7f800000, v0
	v_cmp_ne_u32_e32 vcc, s36, v4
                                        ; implicit-def: $vgpr4
	s_and_saveexec_b64 s[24:25], vcc
	s_xor_b64 s[24:25], exec, s[24:25]
; %bb.110:                              ;   in Loop: Header=BB31_6 Depth=1
	v_bfe_u32 v4, v0, 16, 1
	v_add3_u32 v4, v0, v4, s37
                                        ; implicit-def: $vgpr0
; %bb.111:                              ;   in Loop: Header=BB31_6 Depth=1
	s_andn2_saveexec_b64 s[24:25], s[24:25]
; %bb.112:                              ;   in Loop: Header=BB31_6 Depth=1
	v_or_b32_e32 v4, 0x10000, v0
	v_cmp_eq_u32_sdwa vcc, v0, v3 src0_sel:WORD_0 src1_sel:DWORD
	s_nop 1
	v_cndmask_b32_e32 v4, v4, v0, vcc
; %bb.113:                              ;   in Loop: Header=BB31_6 Depth=1
	s_or_b64 exec, exec, s[24:25]
	v_add_u32_e32 v2, s11, v2
	v_lshl_add_u64 v[8:9], v[2:3], 1, s[16:17]
	global_store_short_d16_hi v[8:9], v4, off
	v_and_b32_e32 v4, 0x7f800000, v26
	v_cmp_ne_u32_e32 vcc, s36, v4
                                        ; implicit-def: $vgpr4
	s_and_saveexec_b64 s[24:25], vcc
	s_xor_b64 s[24:25], exec, s[24:25]
; %bb.114:                              ;   in Loop: Header=BB31_6 Depth=1
	v_bfe_u32 v4, v26, 16, 1
	v_add3_u32 v4, v26, v4, s37
                                        ; implicit-def: $vgpr26
; %bb.115:                              ;   in Loop: Header=BB31_6 Depth=1
	s_andn2_saveexec_b64 s[24:25], s[24:25]
; %bb.116:                              ;   in Loop: Header=BB31_6 Depth=1
	v_or_b32_e32 v4, 0x10000, v26
	v_cmp_eq_u32_sdwa vcc, v26, v3 src0_sel:WORD_0 src1_sel:DWORD
	s_nop 1
	v_cndmask_b32_e32 v4, v4, v26, vcc
; %bb.117:                              ;   in Loop: Header=BB31_6 Depth=1
	s_or_b64 exec, exec, s[24:25]
	v_add_u32_e32 v8, 1, v2
	v_mov_b32_e32 v9, v3
	v_lshl_add_u64 v[8:9], v[8:9], 1, s[16:17]
	global_store_short_d16_hi v[8:9], v4, off
	v_and_b32_e32 v4, 0x7f800000, v22
	v_cmp_ne_u32_e32 vcc, s36, v4
                                        ; implicit-def: $vgpr4
	s_and_saveexec_b64 s[24:25], vcc
	s_xor_b64 s[24:25], exec, s[24:25]
; %bb.118:                              ;   in Loop: Header=BB31_6 Depth=1
	v_bfe_u32 v4, v22, 16, 1
	v_add3_u32 v4, v22, v4, s37
                                        ; implicit-def: $vgpr22
; %bb.119:                              ;   in Loop: Header=BB31_6 Depth=1
	s_andn2_saveexec_b64 s[24:25], s[24:25]
; %bb.120:                              ;   in Loop: Header=BB31_6 Depth=1
	v_or_b32_e32 v4, 0x10000, v22
	v_cmp_eq_u32_sdwa vcc, v22, v3 src0_sel:WORD_0 src1_sel:DWORD
	s_nop 1
	v_cndmask_b32_e32 v4, v4, v22, vcc
; %bb.121:                              ;   in Loop: Header=BB31_6 Depth=1
	s_or_b64 exec, exec, s[24:25]
	v_add_u32_e32 v8, 2, v2
	v_mov_b32_e32 v9, v3
	v_lshl_add_u64 v[8:9], v[8:9], 1, s[16:17]
	global_store_short_d16_hi v[8:9], v4, off
	v_and_b32_e32 v4, 0x7f800000, v124
	v_cmp_ne_u32_e32 vcc, s36, v4
                                        ; implicit-def: $vgpr4
	s_and_saveexec_b64 s[24:25], vcc
	s_xor_b64 s[24:25], exec, s[24:25]
; %bb.122:                              ;   in Loop: Header=BB31_6 Depth=1
	v_bfe_u32 v4, v124, 16, 1
	v_add3_u32 v4, v124, v4, s37
                                        ; implicit-def: $vgpr124
; %bb.123:                              ;   in Loop: Header=BB31_6 Depth=1
	s_andn2_saveexec_b64 s[24:25], s[24:25]
; %bb.124:                              ;   in Loop: Header=BB31_6 Depth=1
	v_or_b32_e32 v4, 0x10000, v124
	v_cmp_eq_u32_sdwa vcc, v124, v3 src0_sel:WORD_0 src1_sel:DWORD
	s_nop 1
	v_cndmask_b32_e32 v4, v4, v124, vcc
; %bb.125:                              ;   in Loop: Header=BB31_6 Depth=1
	s_or_b64 exec, exec, s[24:25]
	v_add_u32_e32 v8, 3, v2
	v_mov_b32_e32 v9, v3
	v_lshl_add_u64 v[8:9], v[8:9], 1, s[16:17]
	global_store_short_d16_hi v[8:9], v4, off
	v_and_b32_e32 v4, 0x7f800000, v120
	v_cmp_ne_u32_e32 vcc, s36, v4
                                        ; implicit-def: $vgpr4
	s_and_saveexec_b64 s[24:25], vcc
	s_xor_b64 s[24:25], exec, s[24:25]
; %bb.126:                              ;   in Loop: Header=BB31_6 Depth=1
	v_bfe_u32 v4, v120, 16, 1
	v_add3_u32 v4, v120, v4, s37
                                        ; implicit-def: $vgpr120
; %bb.127:                              ;   in Loop: Header=BB31_6 Depth=1
	s_andn2_saveexec_b64 s[24:25], s[24:25]
; %bb.128:                              ;   in Loop: Header=BB31_6 Depth=1
	v_or_b32_e32 v4, 0x10000, v120
	v_cmp_eq_u32_sdwa vcc, v120, v3 src0_sel:WORD_0 src1_sel:DWORD
	s_nop 1
	v_cndmask_b32_e32 v4, v4, v120, vcc
; %bb.129:                              ;   in Loop: Header=BB31_6 Depth=1
	s_or_b64 exec, exec, s[24:25]
	v_add_u32_e32 v8, 4, v2
	v_mov_b32_e32 v9, v3
	v_lshl_add_u64 v[8:9], v[8:9], 1, s[16:17]
	global_store_short_d16_hi v[8:9], v4, off
	v_and_b32_e32 v4, 0x7f800000, v18
	v_cmp_ne_u32_e32 vcc, s36, v4
                                        ; implicit-def: $vgpr4
	s_and_saveexec_b64 s[24:25], vcc
	s_xor_b64 s[24:25], exec, s[24:25]
; %bb.130:                              ;   in Loop: Header=BB31_6 Depth=1
	v_bfe_u32 v4, v18, 16, 1
	v_add3_u32 v4, v18, v4, s37
                                        ; implicit-def: $vgpr18
; %bb.131:                              ;   in Loop: Header=BB31_6 Depth=1
	s_andn2_saveexec_b64 s[24:25], s[24:25]
; %bb.132:                              ;   in Loop: Header=BB31_6 Depth=1
	v_or_b32_e32 v4, 0x10000, v18
	v_cmp_eq_u32_sdwa vcc, v18, v3 src0_sel:WORD_0 src1_sel:DWORD
	s_nop 1
	v_cndmask_b32_e32 v4, v4, v18, vcc
; %bb.133:                              ;   in Loop: Header=BB31_6 Depth=1
	s_or_b64 exec, exec, s[24:25]
	v_add_u32_e32 v8, 5, v2
	v_mov_b32_e32 v9, v3
	v_lshl_add_u64 v[8:9], v[8:9], 1, s[16:17]
	global_store_short_d16_hi v[8:9], v4, off
	v_and_b32_e32 v4, 0x7f800000, v14
	v_cmp_ne_u32_e32 vcc, s36, v4
                                        ; implicit-def: $vgpr4
	s_and_saveexec_b64 s[24:25], vcc
	s_xor_b64 s[24:25], exec, s[24:25]
; %bb.134:                              ;   in Loop: Header=BB31_6 Depth=1
	v_bfe_u32 v4, v14, 16, 1
	v_add3_u32 v4, v14, v4, s37
                                        ; implicit-def: $vgpr14
; %bb.135:                              ;   in Loop: Header=BB31_6 Depth=1
	s_andn2_saveexec_b64 s[24:25], s[24:25]
	s_cbranch_execz .LBB31_3
; %bb.136:                              ;   in Loop: Header=BB31_6 Depth=1
	v_or_b32_e32 v4, 0x10000, v14
	v_cmp_eq_u32_sdwa vcc, v14, v3 src0_sel:WORD_0 src1_sel:DWORD
	s_nop 1
	v_cndmask_b32_e32 v4, v4, v14, vcc
	s_branch .LBB31_3
.LBB31_137:
	s_endpgm
	.section	.rodata,"a",@progbits
	.p2align	6, 0x0
	.amdhsa_kernel _Z16wvSplitK_hf_big_I14__hip_bfloat16Li64ELi7ELi16ELi8ELi1ELi4EEviiPKT_S3_PS1_ii
		.amdhsa_group_segment_fixed_size 65536
		.amdhsa_private_segment_fixed_size 168
		.amdhsa_kernarg_size 40
		.amdhsa_user_sgpr_count 2
		.amdhsa_user_sgpr_dispatch_ptr 0
		.amdhsa_user_sgpr_queue_ptr 0
		.amdhsa_user_sgpr_kernarg_segment_ptr 1
		.amdhsa_user_sgpr_dispatch_id 0
		.amdhsa_user_sgpr_kernarg_preload_length 0
		.amdhsa_user_sgpr_kernarg_preload_offset 0
		.amdhsa_user_sgpr_private_segment_size 0
		.amdhsa_uses_dynamic_stack 0
		.amdhsa_enable_private_segment 1
		.amdhsa_system_sgpr_workgroup_id_x 1
		.amdhsa_system_sgpr_workgroup_id_y 0
		.amdhsa_system_sgpr_workgroup_id_z 0
		.amdhsa_system_sgpr_workgroup_info 0
		.amdhsa_system_vgpr_workitem_id 1
		.amdhsa_next_free_vgpr 128
		.amdhsa_next_free_sgpr 44
		.amdhsa_accum_offset 128
		.amdhsa_reserve_vcc 1
		.amdhsa_float_round_mode_32 0
		.amdhsa_float_round_mode_16_64 0
		.amdhsa_float_denorm_mode_32 3
		.amdhsa_float_denorm_mode_16_64 3
		.amdhsa_dx10_clamp 1
		.amdhsa_ieee_mode 1
		.amdhsa_fp16_overflow 0
		.amdhsa_tg_split 0
		.amdhsa_exception_fp_ieee_invalid_op 0
		.amdhsa_exception_fp_denorm_src 0
		.amdhsa_exception_fp_ieee_div_zero 0
		.amdhsa_exception_fp_ieee_overflow 0
		.amdhsa_exception_fp_ieee_underflow 0
		.amdhsa_exception_fp_ieee_inexact 0
		.amdhsa_exception_int_div_zero 0
	.end_amdhsa_kernel
	.section	.text._Z16wvSplitK_hf_big_I14__hip_bfloat16Li64ELi7ELi16ELi8ELi1ELi4EEviiPKT_S3_PS1_ii,"axG",@progbits,_Z16wvSplitK_hf_big_I14__hip_bfloat16Li64ELi7ELi16ELi8ELi1ELi4EEviiPKT_S3_PS1_ii,comdat
.Lfunc_end31:
	.size	_Z16wvSplitK_hf_big_I14__hip_bfloat16Li64ELi7ELi16ELi8ELi1ELi4EEviiPKT_S3_PS1_ii, .Lfunc_end31-_Z16wvSplitK_hf_big_I14__hip_bfloat16Li64ELi7ELi16ELi8ELi1ELi4EEviiPKT_S3_PS1_ii
                                        ; -- End function
	.section	.AMDGPU.csdata,"",@progbits
; Kernel info:
; codeLenInByte = 9268
; NumSgprs: 50
; NumVgprs: 128
; NumAgprs: 0
; TotalNumVgprs: 128
; ScratchSize: 168
; MemoryBound: 0
; FloatMode: 240
; IeeeMode: 1
; LDSByteSize: 65536 bytes/workgroup (compile time only)
; SGPRBlocks: 6
; VGPRBlocks: 15
; NumSGPRsForWavesPerEU: 50
; NumVGPRsForWavesPerEU: 128
; AccumOffset: 128
; Occupancy: 4
; WaveLimiterHint : 0
; COMPUTE_PGM_RSRC2:SCRATCH_EN: 1
; COMPUTE_PGM_RSRC2:USER_SGPR: 2
; COMPUTE_PGM_RSRC2:TRAP_HANDLER: 0
; COMPUTE_PGM_RSRC2:TGID_X_EN: 1
; COMPUTE_PGM_RSRC2:TGID_Y_EN: 0
; COMPUTE_PGM_RSRC2:TGID_Z_EN: 0
; COMPUTE_PGM_RSRC2:TIDIG_COMP_CNT: 1
; COMPUTE_PGM_RSRC3_GFX90A:ACCUM_OFFSET: 31
; COMPUTE_PGM_RSRC3_GFX90A:TG_SPLIT: 0
	.section	.text._Z17wvSplitKQ_hf_sml_I6__halfN3c1013Float8_e4m3fnELi64ELi2ELi16ELi16ELi2ELi1EEviiiPKT0_S5_PT_PKfS9_ii,"axG",@progbits,_Z17wvSplitKQ_hf_sml_I6__halfN3c1013Float8_e4m3fnELi64ELi2ELi16ELi16ELi2ELi1EEviiiPKT0_S5_PT_PKfS9_ii,comdat
	.protected	_Z17wvSplitKQ_hf_sml_I6__halfN3c1013Float8_e4m3fnELi64ELi2ELi16ELi16ELi2ELi1EEviiiPKT0_S5_PT_PKfS9_ii ; -- Begin function _Z17wvSplitKQ_hf_sml_I6__halfN3c1013Float8_e4m3fnELi64ELi2ELi16ELi16ELi2ELi1EEviiiPKT0_S5_PT_PKfS9_ii
	.globl	_Z17wvSplitKQ_hf_sml_I6__halfN3c1013Float8_e4m3fnELi64ELi2ELi16ELi16ELi2ELi1EEviiiPKT0_S5_PT_PKfS9_ii
	.p2align	8
	.type	_Z17wvSplitKQ_hf_sml_I6__halfN3c1013Float8_e4m3fnELi64ELi2ELi16ELi16ELi2ELi1EEviiiPKT0_S5_PT_PKfS9_ii,@function
_Z17wvSplitKQ_hf_sml_I6__halfN3c1013Float8_e4m3fnELi64ELi2ELi16ELi16ELi2ELi1EEviiiPKT0_S5_PT_PKfS9_ii: ; @_Z17wvSplitKQ_hf_sml_I6__halfN3c1013Float8_e4m3fnELi64ELi2ELi16ELi16ELi2ELi1EEviiiPKT0_S5_PT_PKfS9_ii
; %bb.0:
	s_load_dwordx4 s[8:11], s[0:1], 0x0
	s_load_dwordx4 s[4:7], s[0:1], 0x28
	v_bfe_u32 v1, v0, 10, 10
	v_and_b32_e32 v0, 0x3ff, v0
	v_lshlrev_b32_e32 v60, 4, v0
	v_lshl_add_u32 v2, v1, 10, v60
	s_waitcnt lgkmcnt(0)
	s_min_i32 s3, s8, 0x10000
	v_cmp_gt_u32_e32 vcc, s3, v2
	s_and_saveexec_b64 s[12:13], vcc
	s_cbranch_execz .LBB32_3
; %bb.1:
	s_load_dwordx2 s[14:15], s[0:1], 0x18
	s_mov_b64 s[16:17], 0
.LBB32_2:                               ; =>This Inner Loop Header: Depth=1
	s_waitcnt lgkmcnt(0)
	global_load_dwordx4 v[4:7], v2, s[14:15]
	s_waitcnt vmcnt(0)
	ds_write_b128 v2, v[4:7]
	v_add_u32_e32 v2, 0x4000, v2
	v_cmp_le_u32_e32 vcc, s3, v2
	s_or_b64 s[16:17], vcc, s[16:17]
	s_andn2_b64 exec, exec, s[16:17]
	s_cbranch_execnz .LBB32_2
.LBB32_3:
	s_or_b64 exec, exec, s[12:13]
	s_load_dwordx2 s[16:17], s[0:1], 0x38
	s_waitcnt lgkmcnt(0)
	s_barrier
	v_cmp_gt_u32_e32 vcc, s16, v1
	s_and_saveexec_b64 s[12:13], vcc
	s_cbranch_execz .LBB32_22
; %bb.4:
	s_mul_i32 s2, s2, s16
	v_add_lshl_u32 v56, s2, v1, 1
	v_cmp_gt_u32_e32 vcc, s10, v56
	s_and_b64 exec, exec, vcc
	s_cbranch_execz .LBB32_22
; %bb.5:
	s_load_dword s11, s[4:5], 0x0
	s_load_dword s22, s[6:7], 0x0
	s_load_dwordx2 s[12:13], s[0:1], 0x10
	s_load_dwordx2 s[14:15], s[0:1], 0x20
	s_cmp_lg_u32 s8, 0
	s_cselect_b64 s[2:3], -1, 0
	v_cmp_eq_u32_e64 s[0:1], 0, v0
	v_cndmask_b32_e64 v0, 0, 1, s[2:3]
	v_cmp_ne_u32_e64 s[2:3], 1, v0
	v_mbcnt_lo_u32_b32 v0, -1, 0
	v_mbcnt_hi_u32_b32 v0, -1, v0
	s_mul_i32 s4, s16, s17
	v_lshlrev_b32_e32 v0, 2, v0
	s_mov_b32 s7, 0
	s_lshl_b32 s23, s4, 1
	s_mov_b32 s6, s9
	s_mov_b64 s[16:17], 0
	v_mov_b32_e32 v59, 0
	v_and_b32_e32 v61, 0x100, v0
	s_branch .LBB32_7
.LBB32_6:                               ;   in Loop: Header=BB32_7 Depth=1
	s_or_b64 exec, exec, s[4:5]
	v_add_u32_e32 v56, s23, v56
	v_cmp_le_u32_e32 vcc, s10, v56
	s_or_b64 s[16:17], vcc, s[16:17]
	s_andn2_b64 exec, exec, s[16:17]
	s_cbranch_execz .LBB32_22
.LBB32_7:                               ; =>This Loop Header: Depth=1
                                        ;     Child Loop BB32_10 Depth 2
	s_and_b64 vcc, exec, s[2:3]
	v_mov_b32_e32 v31, v59
	v_mov_b32_e32 v30, v59
	;; [unrolled: 1-line block ×13, first 2 shown]
	s_waitcnt lgkmcnt(0)
	v_mov_b32_e32 v18, v59
	v_mov_b32_e32 v17, v59
	;; [unrolled: 1-line block ×19, first 2 shown]
	s_cbranch_vccnz .LBB32_20
; %bb.8:                                ;   in Loop: Header=BB32_7 Depth=1
	v_mov_b32_e32 v0, 0
	v_mul_lo_u32 v57, v56, s9
	s_mov_b32 s24, 0
	v_mov_b32_e32 v1, v0
	v_mov_b32_e32 v2, v0
	;; [unrolled: 1-line block ×31, first 2 shown]
	s_branch .LBB32_10
.LBB32_9:                               ;   in Loop: Header=BB32_10 Depth=2
	s_addk_i32 s24, 0x800
	s_cmp_ge_u32 s24, s8
	s_cbranch_scc1 .LBB32_20
.LBB32_10:                              ;   Parent Loop BB32_7 Depth=1
                                        ; =>  This Inner Loop Header: Depth=2
	v_add_u32_e32 v62, s24, v60
	v_mov_b64_e32 v[32:33], 0
	v_cmp_gt_u32_e32 vcc, s8, v62
	v_add_u32_e32 v63, 0x400, v62
	v_mov_b64_e32 v[40:41], v[32:33]
	v_mov_b64_e32 v[42:43], v[32:33]
	;; [unrolled: 1-line block ×8, first 2 shown]
	s_and_saveexec_b64 s[18:19], vcc
	s_cbranch_execz .LBB32_14
; %bb.11:                               ;   in Loop: Header=BB32_10 Depth=2
	v_add_u32_e32 v58, v62, v57
	s_waitcnt lgkmcnt(0)
	v_lshl_add_u64 v[34:35], s[12:13], 0, v[58:59]
	v_lshl_add_u64 v[34:35], v[34:35], 0, s[6:7]
	global_load_dwordx4 v[48:51], v58, s[12:13] nt
	global_load_dwordx4 v[36:39], v[34:35], off nt
	v_mov_b64_e32 v[46:47], 0
	v_cmp_gt_u32_e64 s[4:5], s8, v63
	v_mov_b64_e32 v[44:45], v[46:47]
	v_mov_b64_e32 v[42:43], v[46:47]
	;; [unrolled: 1-line block ×3, first 2 shown]
	s_and_saveexec_b64 s[20:21], s[4:5]
	s_cbranch_execz .LBB32_13
; %bb.12:                               ;   in Loop: Header=BB32_10 Depth=2
	v_add_u32_e32 v58, v63, v57
	v_lshl_add_u64 v[34:35], s[12:13], 0, v[58:59]
	v_lshl_add_u64 v[34:35], v[34:35], 0, s[6:7]
	global_load_dwordx4 v[44:47], v58, s[12:13] nt
	global_load_dwordx4 v[40:43], v[34:35], off nt
.LBB32_13:                              ;   in Loop: Header=BB32_10 Depth=2
	s_or_b64 exec, exec, s[20:21]
.LBB32_14:                              ;   in Loop: Header=BB32_10 Depth=2
	s_or_b64 exec, exec, s[18:19]
	v_mov_b64_e32 v[34:35], v[32:33]
	v_mov_b64_e32 v[52:53], v[32:33]
	;; [unrolled: 1-line block ×3, first 2 shown]
	s_and_saveexec_b64 s[4:5], vcc
	s_cbranch_execz .LBB32_18
; %bb.15:                               ;   in Loop: Header=BB32_10 Depth=2
	ds_read_b128 v[52:55], v62
	v_mov_b64_e32 v[34:35], 0
	v_cmp_gt_u32_e32 vcc, s8, v63
	v_mov_b64_e32 v[32:33], v[34:35]
	s_and_saveexec_b64 s[18:19], vcc
	s_cbranch_execz .LBB32_17
; %bb.16:                               ;   in Loop: Header=BB32_10 Depth=2
	ds_read_b128 v[32:35], v62 offset:1024
.LBB32_17:                              ;   in Loop: Header=BB32_10 Depth=2
	s_or_b64 exec, exec, s[18:19]
.LBB32_18:                              ;   in Loop: Header=BB32_10 Depth=2
	s_or_b64 exec, exec, s[4:5]
	s_waitcnt vmcnt(1) lgkmcnt(0)
	v_mfma_f32_32x32x16_fp8_fp8 v[16:31], v[52:53], v[48:49], v[16:31]
	s_or_b32 s4, s24, 0x400
	s_cmp_ge_u32 s4, s8
	s_waitcnt vmcnt(0)
	v_mfma_f32_32x32x16_fp8_fp8 v[0:15], v[52:53], v[36:37], v[0:15]
	v_mfma_f32_32x32x16_fp8_fp8 v[16:31], v[54:55], v[50:51], v[16:31]
	;; [unrolled: 1-line block ×3, first 2 shown]
	s_cbranch_scc1 .LBB32_9
; %bb.19:                               ;   in Loop: Header=BB32_10 Depth=2
	v_mfma_f32_32x32x16_fp8_fp8 v[16:31], v[32:33], v[44:45], v[16:31]
	v_mfma_f32_32x32x16_fp8_fp8 v[0:15], v[32:33], v[40:41], v[0:15]
	;; [unrolled: 1-line block ×4, first 2 shown]
	s_branch .LBB32_9
.LBB32_20:                              ;   in Loop: Header=BB32_7 Depth=1
	;;#ASMSTART
	v_add_f32 v24, v25, v24 row_shl:1 bound_ctrl:0 
	;;#ASMEND
	;;#ASMSTART
	v_add_f32 v8, v9, v8 row_shl:1 bound_ctrl:0 
	;;#ASMEND
	;;#ASMSTART
	v_add_f32 v16, v17, v16 row_shl:1 bound_ctrl:0 
	;;#ASMEND
	;;#ASMSTART
	v_add_f32 v0, v1, v0 row_shl:1 bound_ctrl:0 
	;;#ASMEND
	s_nop 0
	;;#ASMSTART
	v_add_f32 v24, v26, v24 row_shl:2 bound_ctrl:0 
	;;#ASMEND
	;;#ASMSTART
	v_add_f32 v8, v10, v8 row_shl:2 bound_ctrl:0 
	;;#ASMEND
	;;#ASMSTART
	v_add_f32 v16, v18, v16 row_shl:2 bound_ctrl:0 
	;;#ASMEND
	;;#ASMSTART
	v_add_f32 v0, v2, v0 row_shl:2 bound_ctrl:0 
	;;#ASMEND
	s_nop 0
	;; [unrolled: 13-line block ×6, first 2 shown]
	;;#ASMSTART
	v_add_f32 v24, v31, v24 row_shl:11 bound_ctrl:0 
	;;#ASMEND
	ds_bpermute_b32 v18, v61, v24 offset:208
	;;#ASMSTART
	v_add_f32 v8, v15, v8 row_shl:11 bound_ctrl:0 
	;;#ASMEND
	ds_bpermute_b32 v2, v61, v8 offset:208
	;;#ASMSTART
	v_add_f32 v16, v23, v16 row_shl:11 bound_ctrl:0 
	;;#ASMEND
	ds_bpermute_b32 v17, v61, v16 offset:144
	s_waitcnt lgkmcnt(0)
	v_add_f32_e32 v18, v24, v18
	ds_bpermute_b32 v18, v61, v18 offset:64
	v_add_f32_e32 v2, v8, v2
	;;#ASMSTART
	v_add_f32 v0, v7, v0 row_shl:11 bound_ctrl:0 
	;;#ASMEND
	ds_bpermute_b32 v1, v61, v0 offset:144
	ds_bpermute_b32 v2, v61, v2 offset:64
	s_and_saveexec_b64 s[4:5], s[0:1]
	s_cbranch_execz .LBB32_6
; %bb.21:                               ;   in Loop: Header=BB32_7 Depth=1
	s_waitcnt lgkmcnt(1)
	v_add_f32_e32 v0, v0, v1
	s_waitcnt lgkmcnt(0)
	v_add_f32_e32 v2, v0, v2
	v_add_f32_e32 v0, v16, v17
	;; [unrolled: 1-line block ×3, first 2 shown]
	v_mul_f32_e32 v0, s11, v0
	v_fma_mixlo_f16 v3, s22, v0, 0
	v_mov_b32_e32 v57, v59
	v_mul_f32_e32 v2, s11, v2
	v_lshl_add_u64 v[0:1], v[56:57], 1, s[14:15]
	v_fma_mixhi_f16 v3, s22, v2, 0
	global_store_dword v[0:1], v3, off
	s_branch .LBB32_6
.LBB32_22:
	s_endpgm
	.section	.rodata,"a",@progbits
	.p2align	6, 0x0
	.amdhsa_kernel _Z17wvSplitKQ_hf_sml_I6__halfN3c1013Float8_e4m3fnELi64ELi2ELi16ELi16ELi2ELi1EEviiiPKT0_S5_PT_PKfS9_ii
		.amdhsa_group_segment_fixed_size 65536
		.amdhsa_private_segment_fixed_size 0
		.amdhsa_kernarg_size 64
		.amdhsa_user_sgpr_count 2
		.amdhsa_user_sgpr_dispatch_ptr 0
		.amdhsa_user_sgpr_queue_ptr 0
		.amdhsa_user_sgpr_kernarg_segment_ptr 1
		.amdhsa_user_sgpr_dispatch_id 0
		.amdhsa_user_sgpr_kernarg_preload_length 0
		.amdhsa_user_sgpr_kernarg_preload_offset 0
		.amdhsa_user_sgpr_private_segment_size 0
		.amdhsa_uses_dynamic_stack 0
		.amdhsa_enable_private_segment 0
		.amdhsa_system_sgpr_workgroup_id_x 1
		.amdhsa_system_sgpr_workgroup_id_y 0
		.amdhsa_system_sgpr_workgroup_id_z 0
		.amdhsa_system_sgpr_workgroup_info 0
		.amdhsa_system_vgpr_workitem_id 1
		.amdhsa_next_free_vgpr 64
		.amdhsa_next_free_sgpr 25
		.amdhsa_accum_offset 64
		.amdhsa_reserve_vcc 1
		.amdhsa_float_round_mode_32 0
		.amdhsa_float_round_mode_16_64 0
		.amdhsa_float_denorm_mode_32 3
		.amdhsa_float_denorm_mode_16_64 3
		.amdhsa_dx10_clamp 1
		.amdhsa_ieee_mode 1
		.amdhsa_fp16_overflow 0
		.amdhsa_tg_split 0
		.amdhsa_exception_fp_ieee_invalid_op 0
		.amdhsa_exception_fp_denorm_src 0
		.amdhsa_exception_fp_ieee_div_zero 0
		.amdhsa_exception_fp_ieee_overflow 0
		.amdhsa_exception_fp_ieee_underflow 0
		.amdhsa_exception_fp_ieee_inexact 0
		.amdhsa_exception_int_div_zero 0
	.end_amdhsa_kernel
	.section	.text._Z17wvSplitKQ_hf_sml_I6__halfN3c1013Float8_e4m3fnELi64ELi2ELi16ELi16ELi2ELi1EEviiiPKT0_S5_PT_PKfS9_ii,"axG",@progbits,_Z17wvSplitKQ_hf_sml_I6__halfN3c1013Float8_e4m3fnELi64ELi2ELi16ELi16ELi2ELi1EEviiiPKT0_S5_PT_PKfS9_ii,comdat
.Lfunc_end32:
	.size	_Z17wvSplitKQ_hf_sml_I6__halfN3c1013Float8_e4m3fnELi64ELi2ELi16ELi16ELi2ELi1EEviiiPKT0_S5_PT_PKfS9_ii, .Lfunc_end32-_Z17wvSplitKQ_hf_sml_I6__halfN3c1013Float8_e4m3fnELi64ELi2ELi16ELi16ELi2ELi1EEviiiPKT0_S5_PT_PKfS9_ii
                                        ; -- End function
	.section	.AMDGPU.csdata,"",@progbits
; Kernel info:
; codeLenInByte = 1348
; NumSgprs: 31
; NumVgprs: 64
; NumAgprs: 0
; TotalNumVgprs: 64
; ScratchSize: 0
; MemoryBound: 1
; FloatMode: 240
; IeeeMode: 1
; LDSByteSize: 65536 bytes/workgroup (compile time only)
; SGPRBlocks: 3
; VGPRBlocks: 7
; NumSGPRsForWavesPerEU: 31
; NumVGPRsForWavesPerEU: 64
; AccumOffset: 64
; Occupancy: 4
; WaveLimiterHint : 0
; COMPUTE_PGM_RSRC2:SCRATCH_EN: 0
; COMPUTE_PGM_RSRC2:USER_SGPR: 2
; COMPUTE_PGM_RSRC2:TRAP_HANDLER: 0
; COMPUTE_PGM_RSRC2:TGID_X_EN: 1
; COMPUTE_PGM_RSRC2:TGID_Y_EN: 0
; COMPUTE_PGM_RSRC2:TGID_Z_EN: 0
; COMPUTE_PGM_RSRC2:TIDIG_COMP_CNT: 1
; COMPUTE_PGM_RSRC3_GFX90A:ACCUM_OFFSET: 15
; COMPUTE_PGM_RSRC3_GFX90A:TG_SPLIT: 0
	.section	.text._Z13wvSplitKQ_hf_I6__halfN3c1013Float8_e4m3fnELi64ELi2ELi16ELi16ELi2ELi1EEviiiPKT0_S5_PT_PKfS9_ii,"axG",@progbits,_Z13wvSplitKQ_hf_I6__halfN3c1013Float8_e4m3fnELi64ELi2ELi16ELi16ELi2ELi1EEviiiPKT0_S5_PT_PKfS9_ii,comdat
	.protected	_Z13wvSplitKQ_hf_I6__halfN3c1013Float8_e4m3fnELi64ELi2ELi16ELi16ELi2ELi1EEviiiPKT0_S5_PT_PKfS9_ii ; -- Begin function _Z13wvSplitKQ_hf_I6__halfN3c1013Float8_e4m3fnELi64ELi2ELi16ELi16ELi2ELi1EEviiiPKT0_S5_PT_PKfS9_ii
	.globl	_Z13wvSplitKQ_hf_I6__halfN3c1013Float8_e4m3fnELi64ELi2ELi16ELi16ELi2ELi1EEviiiPKT0_S5_PT_PKfS9_ii
	.p2align	8
	.type	_Z13wvSplitKQ_hf_I6__halfN3c1013Float8_e4m3fnELi64ELi2ELi16ELi16ELi2ELi1EEviiiPKT0_S5_PT_PKfS9_ii,@function
_Z13wvSplitKQ_hf_I6__halfN3c1013Float8_e4m3fnELi64ELi2ELi16ELi16ELi2ELi1EEviiiPKT0_S5_PT_PKfS9_ii: ; @_Z13wvSplitKQ_hf_I6__halfN3c1013Float8_e4m3fnELi64ELi2ELi16ELi16ELi2ELi1EEviiiPKT0_S5_PT_PKfS9_ii
; %bb.0:
	s_load_dwordx4 s[12:15], s[0:1], 0x0
	s_load_dwordx2 s[10:11], s[0:1], 0x18
	s_load_dwordx4 s[4:7], s[0:1], 0x28
	v_bfe_u32 v1, v0, 10, 10
	v_and_b32_e32 v0, 0x3ff, v0
	v_lshlrev_b32_e32 v60, 4, v0
	v_lshl_add_u32 v2, v1, 10, v60
	s_waitcnt lgkmcnt(0)
	s_min_i32 s3, s12, 0x10000
	v_cmp_gt_u32_e32 vcc, s3, v2
	s_and_saveexec_b64 s[8:9], vcc
	s_cbranch_execz .LBB33_3
; %bb.1:
	s_mov_b64 s[16:17], 0
.LBB33_2:                               ; =>This Inner Loop Header: Depth=1
	global_load_dwordx4 v[4:7], v2, s[10:11]
	s_waitcnt vmcnt(0)
	ds_write_b128 v2, v[4:7]
	v_add_u32_e32 v2, 0x4000, v2
	v_cmp_le_u32_e32 vcc, s3, v2
	s_or_b64 s[16:17], vcc, s[16:17]
	s_andn2_b64 exec, exec, s[16:17]
	s_cbranch_execnz .LBB33_2
.LBB33_3:
	s_or_b64 exec, exec, s[8:9]
	s_load_dwordx2 s[8:9], s[0:1], 0x38
	s_waitcnt lgkmcnt(0)
	s_barrier
	v_cmp_gt_u32_e32 vcc, s8, v1
	s_and_saveexec_b64 s[16:17], vcc
	s_cbranch_execz .LBB33_36
; %bb.4:
	s_mul_i32 s2, s2, s8
	v_add_lshl_u32 v56, s2, v1, 1
	v_cmp_gt_u32_e32 vcc, s14, v56
	s_and_b64 exec, exec, vcc
	s_cbranch_execz .LBB33_36
; %bb.5:
	s_load_dword s15, s[4:5], 0x0
	s_load_dword s28, s[6:7], 0x0
	s_load_dwordx2 s[16:17], s[0:1], 0x10
	s_load_dwordx2 s[18:19], s[0:1], 0x20
	s_cmp_lg_u32 s12, 0
	s_cselect_b64 s[2:3], -1, 0
	v_cmp_eq_u32_e64 s[0:1], 0, v0
	v_cndmask_b32_e64 v0, 0, 1, s[2:3]
	v_cmp_ne_u32_e64 s[2:3], 1, v0
	v_mbcnt_lo_u32_b32 v0, -1, 0
	v_mbcnt_hi_u32_b32 v0, -1, v0
	s_mul_i32 s4, s8, s9
	v_lshlrev_b32_e32 v0, 2, v0
	s_lshl_b32 s29, s4, 1
	s_ashr_i32 s21, s13, 31
	s_mov_b32 s20, s13
	s_mov_b64 s[22:23], 0
	v_mov_b32_e32 v59, 0
	s_mov_b32 s30, 0xffff
	v_and_b32_e32 v61, 0x100, v0
                                        ; implicit-def: $vgpr40_vgpr41_vgpr42_vgpr43
                                        ; implicit-def: $vgpr44_vgpr45_vgpr46_vgpr47
                                        ; implicit-def: $vgpr32_vgpr33_vgpr34_vgpr35
                                        ; implicit-def: $vgpr36_vgpr37_vgpr38_vgpr39
                                        ; implicit-def: $vgpr50_vgpr51
                                        ; implicit-def: $vgpr54_vgpr55
	s_branch .LBB33_7
.LBB33_6:                               ;   in Loop: Header=BB33_7 Depth=1
	s_or_b64 exec, exec, s[4:5]
	v_add_u32_e32 v56, s29, v56
	v_cmp_le_u32_e32 vcc, s14, v56
	s_or_b64 s[22:23], vcc, s[22:23]
	s_andn2_b64 exec, exec, s[22:23]
	s_cbranch_execz .LBB33_36
.LBB33_7:                               ; =>This Loop Header: Depth=1
                                        ;     Child Loop BB33_11 Depth 2
	v_or_b32_e32 v62, 1, v56
	s_and_b64 vcc, exec, s[2:3]
	v_cmp_gt_u32_e64 s[4:5], s14, v62
	s_cbranch_vccnz .LBB33_32
; %bb.8:                                ;   in Loop: Header=BB33_7 Depth=1
	v_mov_b32_e32 v0, 0
	v_mul_lo_u32 v57, v56, s13
	s_mov_b32 s31, 0
	s_waitcnt lgkmcnt(0)
	v_mov_b32_e32 v1, v0
	v_mov_b32_e32 v2, v0
	;; [unrolled: 1-line block ×31, first 2 shown]
	s_branch .LBB33_11
.LBB33_9:                               ;   in Loop: Header=BB33_11 Depth=2
	s_or_b64 exec, exec, s[8:9]
.LBB33_10:                              ;   in Loop: Header=BB33_11 Depth=2
	s_or_b64 exec, exec, s[6:7]
	s_addk_i32 s31, 0x800
	s_cmp_ge_u32 s31, s12
	s_cbranch_scc1 .LBB33_33
.LBB33_11:                              ;   Parent Loop BB33_7 Depth=1
                                        ; =>  This Inner Loop Header: Depth=2
	v_add_u32_e32 v63, s31, v60
	v_cmp_gt_u32_e32 vcc, s12, v63
	s_and_saveexec_b64 s[24:25], vcc
	s_cbranch_execz .LBB33_29
; %bb.12:                               ;   in Loop: Header=BB33_11 Depth=2
	v_add_u32_e32 v58, v63, v57
	s_waitcnt lgkmcnt(0)
	global_load_dwordx4 v[36:39], v58, s[16:17] nt
	s_and_saveexec_b64 s[6:7], s[4:5]
	s_cbranch_execz .LBB33_14
; %bb.13:                               ;   in Loop: Header=BB33_11 Depth=2
	s_waitcnt vmcnt(1)
	v_lshl_add_u64 v[44:45], s[16:17], 0, v[58:59]
	v_lshl_add_u64 v[44:45], v[44:45], 0, s[20:21]
	global_load_dwordx4 v[44:47], v[44:45], off nt
.LBB33_14:                              ;   in Loop: Header=BB33_11 Depth=2
	s_or_b64 exec, exec, s[6:7]
	v_add_u32_e32 v64, 0x400, v63
	v_cmp_gt_u32_e64 s[6:7], s12, v64
	s_and_saveexec_b64 s[8:9], s[6:7]
	s_cbranch_execz .LBB33_18
; %bb.15:                               ;   in Loop: Header=BB33_11 Depth=2
	v_add_u32_e32 v58, v64, v57
	global_load_dwordx4 v[32:35], v58, s[16:17] nt
	s_and_saveexec_b64 s[26:27], s[4:5]
	s_cbranch_execz .LBB33_17
; %bb.16:                               ;   in Loop: Header=BB33_11 Depth=2
	s_waitcnt vmcnt(2)
	v_lshl_add_u64 v[40:41], s[16:17], 0, v[58:59]
	v_lshl_add_u64 v[40:41], v[40:41], 0, s[20:21]
	global_load_dwordx4 v[40:43], v[40:41], off nt
.LBB33_17:                              ;   in Loop: Header=BB33_11 Depth=2
	s_or_b64 exec, exec, s[26:27]
.LBB33_18:                              ;   in Loop: Header=BB33_11 Depth=2
	s_or_b64 exec, exec, s[8:9]
	v_cmp_lt_u32_e64 s[8:9], s30, v63
                                        ; implicit-def: $vgpr52_vgpr53
	s_and_saveexec_b64 s[26:27], s[8:9]
	s_xor_b64 s[8:9], exec, s[26:27]
	s_cbranch_execnz .LBB33_21
; %bb.19:                               ;   in Loop: Header=BB33_11 Depth=2
	s_andn2_saveexec_b64 s[8:9], s[8:9]
	s_cbranch_execnz .LBB33_22
.LBB33_20:                              ;   in Loop: Header=BB33_11 Depth=2
	s_or_b64 exec, exec, s[8:9]
	s_and_saveexec_b64 s[8:9], s[6:7]
	s_cbranch_execnz .LBB33_23
	s_branch .LBB33_28
.LBB33_21:                              ;   in Loop: Header=BB33_11 Depth=2
	global_load_dwordx4 v[52:55], v63, s[10:11]
	s_andn2_saveexec_b64 s[8:9], s[8:9]
	s_cbranch_execz .LBB33_20
.LBB33_22:                              ;   in Loop: Header=BB33_11 Depth=2
	s_waitcnt vmcnt(0)
	ds_read_b128 v[52:55], v63
	s_or_b64 exec, exec, s[8:9]
	s_and_saveexec_b64 s[8:9], s[6:7]
	s_cbranch_execz .LBB33_28
.LBB33_23:                              ;   in Loop: Header=BB33_11 Depth=2
	v_cmp_lt_u32_e64 s[6:7], s30, v64
                                        ; implicit-def: $vgpr48_vgpr49
	s_and_saveexec_b64 s[26:27], s[6:7]
	s_xor_b64 s[6:7], exec, s[26:27]
	s_cbranch_execz .LBB33_25
; %bb.24:                               ;   in Loop: Header=BB33_11 Depth=2
	global_load_dwordx4 v[48:51], v64, s[10:11]
.LBB33_25:                              ;   in Loop: Header=BB33_11 Depth=2
	s_andn2_saveexec_b64 s[6:7], s[6:7]
	s_cbranch_execz .LBB33_27
; %bb.26:                               ;   in Loop: Header=BB33_11 Depth=2
	s_waitcnt vmcnt(0)
	ds_read_b128 v[48:51], v63 offset:1024
.LBB33_27:                              ;   in Loop: Header=BB33_11 Depth=2
	s_or_b64 exec, exec, s[6:7]
.LBB33_28:                              ;   in Loop: Header=BB33_11 Depth=2
	s_or_b64 exec, exec, s[8:9]
.LBB33_29:                              ;   in Loop: Header=BB33_11 Depth=2
	s_or_b64 exec, exec, s[24:25]
	s_and_saveexec_b64 s[6:7], vcc
	s_cbranch_execz .LBB33_10
; %bb.30:                               ;   in Loop: Header=BB33_11 Depth=2
	s_waitcnt vmcnt(0) lgkmcnt(0)
	v_mfma_f32_32x32x16_fp8_fp8 v[16:31], v[52:53], v[36:37], v[16:31]
	v_add_u32_e32 v58, 0x400, v63
	v_cmp_gt_u32_e32 vcc, s12, v58
	v_mfma_f32_32x32x16_fp8_fp8 v[0:15], v[52:53], v[44:45], v[0:15]
	v_mfma_f32_32x32x16_fp8_fp8 v[16:31], v[54:55], v[38:39], v[16:31]
	;; [unrolled: 1-line block ×3, first 2 shown]
	s_and_saveexec_b64 s[8:9], vcc
	s_cbranch_execz .LBB33_9
; %bb.31:                               ;   in Loop: Header=BB33_11 Depth=2
	v_mfma_f32_32x32x16_fp8_fp8 v[16:31], v[48:49], v[32:33], v[16:31]
	v_mfma_f32_32x32x16_fp8_fp8 v[0:15], v[48:49], v[40:41], v[0:15]
	;; [unrolled: 1-line block ×4, first 2 shown]
	s_branch .LBB33_9
.LBB33_32:                              ;   in Loop: Header=BB33_7 Depth=1
	v_mov_b32_e32 v31, v59
	v_mov_b32_e32 v30, v59
	;; [unrolled: 1-line block ×13, first 2 shown]
	s_waitcnt lgkmcnt(0)
	v_mov_b32_e32 v18, v59
	v_mov_b32_e32 v17, v59
	;; [unrolled: 1-line block ×19, first 2 shown]
.LBB33_33:                              ;   in Loop: Header=BB33_7 Depth=1
	;;#ASMSTART
	v_add_f32 v24, v25, v24 row_shl:1 bound_ctrl:0 
	;;#ASMEND
	;;#ASMSTART
	v_add_f32 v8, v9, v8 row_shl:1 bound_ctrl:0 
	;;#ASMEND
	;;#ASMSTART
	v_add_f32 v16, v17, v16 row_shl:1 bound_ctrl:0 
	;;#ASMEND
	;;#ASMSTART
	v_add_f32 v0, v1, v0 row_shl:1 bound_ctrl:0 
	;;#ASMEND
	s_nop 0
	;;#ASMSTART
	v_add_f32 v24, v26, v24 row_shl:2 bound_ctrl:0 
	;;#ASMEND
	;;#ASMSTART
	v_add_f32 v8, v10, v8 row_shl:2 bound_ctrl:0 
	;;#ASMEND
	;;#ASMSTART
	v_add_f32 v16, v18, v16 row_shl:2 bound_ctrl:0 
	;;#ASMEND
	;;#ASMSTART
	v_add_f32 v0, v2, v0 row_shl:2 bound_ctrl:0 
	;;#ASMEND
	s_nop 0
	;; [unrolled: 13-line block ×6, first 2 shown]
	;;#ASMSTART
	v_add_f32 v24, v31, v24 row_shl:11 bound_ctrl:0 
	;;#ASMEND
	ds_bpermute_b32 v18, v61, v24 offset:208
	;;#ASMSTART
	v_add_f32 v8, v15, v8 row_shl:11 bound_ctrl:0 
	;;#ASMEND
	ds_bpermute_b32 v2, v61, v8 offset:208
	;; [unrolled: 4-line block ×3, first 2 shown]
	s_waitcnt lgkmcnt(0)
	v_add_f32_e32 v18, v24, v18
	ds_bpermute_b32 v18, v61, v18 offset:64
	v_add_f32_e32 v2, v8, v2
	;;#ASMSTART
	v_add_f32 v0, v7, v0 row_shl:11 bound_ctrl:0 
	;;#ASMEND
	ds_bpermute_b32 v1, v61, v0 offset:144
	ds_bpermute_b32 v4, v61, v2 offset:64
	s_and_saveexec_b64 s[4:5], s[0:1]
	s_cbranch_execz .LBB33_6
; %bb.34:                               ;   in Loop: Header=BB33_7 Depth=1
	v_add_f32_e32 v2, v16, v17
	s_waitcnt lgkmcnt(2)
	v_add_f32_e32 v2, v2, v18
	v_mul_f32_e32 v2, s15, v2
	v_mov_b32_e32 v57, v59
	v_fma_mixlo_f16 v5, s28, v2, 0
	v_lshl_add_u64 v[2:3], v[56:57], 1, s[18:19]
	v_cmp_gt_u32_e32 vcc, s14, v62
	global_store_short v[2:3], v5, off
	s_and_b64 exec, exec, vcc
	s_cbranch_execz .LBB33_6
; %bb.35:                               ;   in Loop: Header=BB33_7 Depth=1
	s_waitcnt lgkmcnt(1)
	v_add_f32_e32 v0, v0, v1
	s_waitcnt lgkmcnt(0)
	v_add_f32_e32 v0, v0, v4
	v_mul_f32_e32 v0, s15, v0
	v_fma_mixlo_f16 v0, s28, v0, 0
	global_store_short v[2:3], v0, off offset:2
	s_branch .LBB33_6
.LBB33_36:
	s_endpgm
	.section	.rodata,"a",@progbits
	.p2align	6, 0x0
	.amdhsa_kernel _Z13wvSplitKQ_hf_I6__halfN3c1013Float8_e4m3fnELi64ELi2ELi16ELi16ELi2ELi1EEviiiPKT0_S5_PT_PKfS9_ii
		.amdhsa_group_segment_fixed_size 65536
		.amdhsa_private_segment_fixed_size 0
		.amdhsa_kernarg_size 64
		.amdhsa_user_sgpr_count 2
		.amdhsa_user_sgpr_dispatch_ptr 0
		.amdhsa_user_sgpr_queue_ptr 0
		.amdhsa_user_sgpr_kernarg_segment_ptr 1
		.amdhsa_user_sgpr_dispatch_id 0
		.amdhsa_user_sgpr_kernarg_preload_length 0
		.amdhsa_user_sgpr_kernarg_preload_offset 0
		.amdhsa_user_sgpr_private_segment_size 0
		.amdhsa_uses_dynamic_stack 0
		.amdhsa_enable_private_segment 0
		.amdhsa_system_sgpr_workgroup_id_x 1
		.amdhsa_system_sgpr_workgroup_id_y 0
		.amdhsa_system_sgpr_workgroup_id_z 0
		.amdhsa_system_sgpr_workgroup_info 0
		.amdhsa_system_vgpr_workitem_id 1
		.amdhsa_next_free_vgpr 65
		.amdhsa_next_free_sgpr 32
		.amdhsa_accum_offset 68
		.amdhsa_reserve_vcc 1
		.amdhsa_float_round_mode_32 0
		.amdhsa_float_round_mode_16_64 0
		.amdhsa_float_denorm_mode_32 3
		.amdhsa_float_denorm_mode_16_64 3
		.amdhsa_dx10_clamp 1
		.amdhsa_ieee_mode 1
		.amdhsa_fp16_overflow 0
		.amdhsa_tg_split 0
		.amdhsa_exception_fp_ieee_invalid_op 0
		.amdhsa_exception_fp_denorm_src 0
		.amdhsa_exception_fp_ieee_div_zero 0
		.amdhsa_exception_fp_ieee_overflow 0
		.amdhsa_exception_fp_ieee_underflow 0
		.amdhsa_exception_fp_ieee_inexact 0
		.amdhsa_exception_int_div_zero 0
	.end_amdhsa_kernel
	.section	.text._Z13wvSplitKQ_hf_I6__halfN3c1013Float8_e4m3fnELi64ELi2ELi16ELi16ELi2ELi1EEviiiPKT0_S5_PT_PKfS9_ii,"axG",@progbits,_Z13wvSplitKQ_hf_I6__halfN3c1013Float8_e4m3fnELi64ELi2ELi16ELi16ELi2ELi1EEviiiPKT0_S5_PT_PKfS9_ii,comdat
.Lfunc_end33:
	.size	_Z13wvSplitKQ_hf_I6__halfN3c1013Float8_e4m3fnELi64ELi2ELi16ELi16ELi2ELi1EEviiiPKT0_S5_PT_PKfS9_ii, .Lfunc_end33-_Z13wvSplitKQ_hf_I6__halfN3c1013Float8_e4m3fnELi64ELi2ELi16ELi16ELi2ELi1EEviiiPKT0_S5_PT_PKfS9_ii
                                        ; -- End function
	.section	.AMDGPU.csdata,"",@progbits
; Kernel info:
; codeLenInByte = 1464
; NumSgprs: 38
; NumVgprs: 65
; NumAgprs: 0
; TotalNumVgprs: 65
; ScratchSize: 0
; MemoryBound: 1
; FloatMode: 240
; IeeeMode: 1
; LDSByteSize: 65536 bytes/workgroup (compile time only)
; SGPRBlocks: 4
; VGPRBlocks: 8
; NumSGPRsForWavesPerEU: 38
; NumVGPRsForWavesPerEU: 65
; AccumOffset: 68
; Occupancy: 4
; WaveLimiterHint : 0
; COMPUTE_PGM_RSRC2:SCRATCH_EN: 0
; COMPUTE_PGM_RSRC2:USER_SGPR: 2
; COMPUTE_PGM_RSRC2:TRAP_HANDLER: 0
; COMPUTE_PGM_RSRC2:TGID_X_EN: 1
; COMPUTE_PGM_RSRC2:TGID_Y_EN: 0
; COMPUTE_PGM_RSRC2:TGID_Z_EN: 0
; COMPUTE_PGM_RSRC2:TIDIG_COMP_CNT: 1
; COMPUTE_PGM_RSRC3_GFX90A:ACCUM_OFFSET: 16
; COMPUTE_PGM_RSRC3_GFX90A:TG_SPLIT: 0
	.section	.text._Z17wvSplitKQ_hf_sml_I6__halfN3c1013Float8_e4m3fnELi64ELi2ELi16ELi16ELi2ELi2EEviiiPKT0_S5_PT_PKfS9_ii,"axG",@progbits,_Z17wvSplitKQ_hf_sml_I6__halfN3c1013Float8_e4m3fnELi64ELi2ELi16ELi16ELi2ELi2EEviiiPKT0_S5_PT_PKfS9_ii,comdat
	.protected	_Z17wvSplitKQ_hf_sml_I6__halfN3c1013Float8_e4m3fnELi64ELi2ELi16ELi16ELi2ELi2EEviiiPKT0_S5_PT_PKfS9_ii ; -- Begin function _Z17wvSplitKQ_hf_sml_I6__halfN3c1013Float8_e4m3fnELi64ELi2ELi16ELi16ELi2ELi2EEviiiPKT0_S5_PT_PKfS9_ii
	.globl	_Z17wvSplitKQ_hf_sml_I6__halfN3c1013Float8_e4m3fnELi64ELi2ELi16ELi16ELi2ELi2EEviiiPKT0_S5_PT_PKfS9_ii
	.p2align	8
	.type	_Z17wvSplitKQ_hf_sml_I6__halfN3c1013Float8_e4m3fnELi64ELi2ELi16ELi16ELi2ELi2EEviiiPKT0_S5_PT_PKfS9_ii,@function
_Z17wvSplitKQ_hf_sml_I6__halfN3c1013Float8_e4m3fnELi64ELi2ELi16ELi16ELi2ELi2EEviiiPKT0_S5_PT_PKfS9_ii: ; @_Z17wvSplitKQ_hf_sml_I6__halfN3c1013Float8_e4m3fnELi64ELi2ELi16ELi16ELi2ELi2EEviiiPKT0_S5_PT_PKfS9_ii
; %bb.0:
	s_load_dwordx4 s[8:11], s[0:1], 0x0
	s_load_dwordx4 s[4:7], s[0:1], 0x28
	v_bfe_u32 v1, v0, 10, 10
	v_and_b32_e32 v0, 0x3ff, v0
	v_lshlrev_b32_e32 v100, 4, v0
	s_waitcnt lgkmcnt(0)
	s_lshl_b32 s3, s8, 1
	v_lshl_add_u32 v2, v1, 10, v100
	s_min_i32 s3, s3, 0x10000
	v_cmp_gt_u32_e32 vcc, s3, v2
	s_and_saveexec_b64 s[12:13], vcc
	s_cbranch_execz .LBB34_3
; %bb.1:
	s_load_dwordx2 s[14:15], s[0:1], 0x18
	s_mov_b64 s[16:17], 0
.LBB34_2:                               ; =>This Inner Loop Header: Depth=1
	s_waitcnt lgkmcnt(0)
	global_load_dwordx4 v[4:7], v2, s[14:15]
	s_waitcnt vmcnt(0)
	ds_write_b128 v2, v[4:7]
	v_add_u32_e32 v2, 0x4000, v2
	v_cmp_le_u32_e32 vcc, s3, v2
	s_or_b64 s[16:17], vcc, s[16:17]
	s_andn2_b64 exec, exec, s[16:17]
	s_cbranch_execnz .LBB34_2
.LBB34_3:
	s_or_b64 exec, exec, s[12:13]
	s_load_dwordx2 s[16:17], s[0:1], 0x38
	s_waitcnt lgkmcnt(0)
	s_barrier
	v_cmp_gt_u32_e32 vcc, s16, v1
	s_and_saveexec_b64 s[12:13], vcc
	s_cbranch_execz .LBB34_23
; %bb.4:
	s_mul_i32 s2, s2, s16
	v_add_u32_e32 v1, s2, v1
	v_lshlrev_b32_e32 v96, 1, v1
	v_cmp_gt_u32_e32 vcc, s10, v96
	s_and_b64 exec, exec, vcc
	s_cbranch_execz .LBB34_23
; %bb.5:
	s_load_dword s11, s[4:5], 0x0
	s_load_dword s22, s[6:7], 0x0
	s_load_dwordx2 s[12:13], s[0:1], 0x10
	s_load_dwordx2 s[14:15], s[0:1], 0x20
	s_cmp_lg_u32 s8, 0
	v_cmp_eq_u32_e64 s[0:1], 0, v0
	s_cselect_b64 s[2:3], -1, 0
	v_mul_lo_u32 v0, s9, v1
	v_lshl_add_u32 v102, v0, 1, v100
	v_cndmask_b32_e64 v0, 0, 1, s[2:3]
	v_cmp_ne_u32_e64 s[2:3], 1, v0
	v_mbcnt_lo_u32_b32 v0, -1, 0
	s_mul_i32 s4, s16, s17
	v_mbcnt_hi_u32_b32 v0, -1, v0
	s_lshl_b32 s23, s4, 1
	s_mul_i32 s4, s4, s9
	v_lshlrev_b32_e32 v0, 2, v0
	s_mov_b32 s7, 0
	s_mov_b32 s6, s9
	v_add_u32_e32 v101, s8, v100
	s_lshl_b32 s9, s4, 1
	s_mov_b64 s[16:17], 0
	v_mov_b32_e32 v99, 0
	v_and_b32_e32 v103, 0x100, v0
	s_branch .LBB34_7
.LBB34_6:                               ;   in Loop: Header=BB34_7 Depth=1
	s_or_b64 exec, exec, s[4:5]
	v_add_u32_e32 v96, s23, v96
	v_cmp_le_u32_e32 vcc, s10, v96
	s_or_b64 s[16:17], vcc, s[16:17]
	v_add_u32_e32 v102, s9, v102
	s_andn2_b64 exec, exec, s[16:17]
	s_cbranch_execz .LBB34_23
.LBB34_7:                               ; =>This Loop Header: Depth=1
                                        ;     Child Loop BB34_9 Depth 2
	s_and_b64 vcc, exec, s[2:3]
	v_mov_b32_e32 v15, v99
	v_mov_b32_e32 v14, v99
	;; [unrolled: 1-line block ×7, first 2 shown]
	s_waitcnt lgkmcnt(0)
	v_mov_b32_e32 v8, v99
	v_mov_b32_e32 v7, v99
	;; [unrolled: 1-line block ×57, first 2 shown]
	s_cbranch_vccnz .LBB34_21
; %bb.8:                                ;   in Loop: Header=BB34_7 Depth=1
	v_mov_b32_e32 v32, 0
	s_movk_i32 s24, 0x400
	v_mov_b32_e32 v33, v32
	v_mov_b32_e32 v34, v32
	;; [unrolled: 1-line block ×63, first 2 shown]
.LBB34_9:                               ;   Parent Loop BB34_7 Depth=1
                                        ; =>  This Inner Loop Header: Depth=2
	v_add_u32_e32 v97, s24, v100
	v_add_u32_e32 v104, 0xfffffc00, v97
	v_mov_b64_e32 v[64:65], 0
	v_cmp_gt_u32_e32 vcc, s8, v104
	v_mov_b64_e32 v[68:69], v[64:65]
	v_mov_b64_e32 v[70:71], v[64:65]
	;; [unrolled: 1-line block ×8, first 2 shown]
	s_and_saveexec_b64 s[18:19], vcc
	s_cbranch_execz .LBB34_13
; %bb.10:                               ;   in Loop: Header=BB34_9 Depth=2
	v_add_u32_e32 v66, s24, v102
	v_add_u32_e32 v98, 0xfffffc00, v66
	s_waitcnt lgkmcnt(0)
	v_lshl_add_u64 v[68:69], s[12:13], 0, v[98:99]
	v_lshl_add_u64 v[68:69], v[68:69], 0, s[6:7]
	global_load_dwordx4 v[80:83], v98, s[12:13] nt
	global_load_dwordx4 v[76:79], v[68:69], off nt
	v_mov_b64_e32 v[74:75], 0
	v_cmp_gt_u32_e64 s[4:5], s8, v97
	v_mov_b64_e32 v[72:73], v[74:75]
	v_mov_b64_e32 v[70:71], v[74:75]
	;; [unrolled: 1-line block ×3, first 2 shown]
	s_and_saveexec_b64 s[20:21], s[4:5]
	s_cbranch_execz .LBB34_12
; %bb.11:                               ;   in Loop: Header=BB34_9 Depth=2
	v_mov_b32_e32 v67, v99
	v_lshl_add_u64 v[68:69], s[12:13], 0, v[66:67]
	v_lshl_add_u64 v[68:69], v[68:69], 0, s[6:7]
	global_load_dwordx4 v[72:75], v66, s[12:13] nt
	s_nop 0
	global_load_dwordx4 v[68:71], v[68:69], off nt
.LBB34_12:                              ;   in Loop: Header=BB34_9 Depth=2
	s_or_b64 exec, exec, s[20:21]
.LBB34_13:                              ;   in Loop: Header=BB34_9 Depth=2
	s_or_b64 exec, exec, s[18:19]
	v_mov_b64_e32 v[66:67], v[64:65]
	v_mov_b64_e32 v[88:89], v[64:65]
	;; [unrolled: 1-line block ×7, first 2 shown]
	s_and_saveexec_b64 s[4:5], vcc
	s_cbranch_execz .LBB34_17
; %bb.14:                               ;   in Loop: Header=BB34_9 Depth=2
	v_add_u32_e32 v98, s24, v101
	v_add_u32_e32 v64, 0xfffffc00, v98
	ds_read_b128 v[92:95], v104
	ds_read_b128 v[88:91], v64
	v_mov_b64_e32 v[86:87], 0
	v_cmp_gt_u32_e32 vcc, s8, v97
	v_mov_b64_e32 v[84:85], v[86:87]
	v_mov_b64_e32 v[66:67], v[86:87]
	;; [unrolled: 1-line block ×3, first 2 shown]
	s_and_saveexec_b64 s[18:19], vcc
	s_cbranch_execz .LBB34_16
; %bb.15:                               ;   in Loop: Header=BB34_9 Depth=2
	ds_read_b128 v[84:87], v97
	ds_read_b128 v[64:67], v98
.LBB34_16:                              ;   in Loop: Header=BB34_9 Depth=2
	s_or_b64 exec, exec, s[18:19]
.LBB34_17:                              ;   in Loop: Header=BB34_9 Depth=2
	s_or_b64 exec, exec, s[4:5]
	s_waitcnt vmcnt(1) lgkmcnt(0)
	v_mfma_f32_32x32x16_fp8_fp8 v[0:15], v[92:93], v[80:81], v[0:15]
	s_cmp_ge_u32 s24, s8
	s_waitcnt vmcnt(0)
	v_mfma_f32_32x32x16_fp8_fp8 v[16:31], v[92:93], v[76:77], v[16:31]
	v_mfma_f32_32x32x16_fp8_fp8 v[48:63], v[88:89], v[80:81], v[48:63]
	;; [unrolled: 1-line block ×7, first 2 shown]
	s_cbranch_scc1 .LBB34_19
; %bb.18:                               ;   in Loop: Header=BB34_9 Depth=2
	v_mfma_f32_32x32x16_fp8_fp8 v[0:15], v[84:85], v[72:73], v[0:15]
	v_mfma_f32_32x32x16_fp8_fp8 v[16:31], v[84:85], v[68:69], v[16:31]
	;; [unrolled: 1-line block ×8, first 2 shown]
.LBB34_19:                              ;   in Loop: Header=BB34_9 Depth=2
	s_add_i32 s4, s24, 0x800
	s_add_i32 s5, s24, 0x400
	s_cmp_ge_u32 s5, s8
	s_cbranch_scc1 .LBB34_21
; %bb.20:                               ;   in Loop: Header=BB34_9 Depth=2
	s_mov_b32 s24, s4
	s_branch .LBB34_9
.LBB34_21:                              ;   in Loop: Header=BB34_7 Depth=1
	;;#ASMSTART
	v_add_f32 v8, v9, v8 row_shl:1 bound_ctrl:0 
	;;#ASMEND
	;;#ASMSTART
	v_add_f32 v0, v1, v0 row_shl:1 bound_ctrl:0 
	;;#ASMEND
	;;#ASMSTART
	v_add_f32 v24, v25, v24 row_shl:1 bound_ctrl:0 
	;;#ASMEND
	;;#ASMSTART
	v_add_f32 v56, v57, v56 row_shl:1 bound_ctrl:0 
	;;#ASMEND
	;;#ASMSTART
	v_add_f32 v40, v41, v40 row_shl:1 bound_ctrl:0 
	;;#ASMEND
	;;#ASMSTART
	v_add_f32 v16, v17, v16 row_shl:1 bound_ctrl:0 
	;;#ASMEND
	s_nop 0
	;;#ASMSTART
	v_add_f32 v8, v10, v8 row_shl:2 bound_ctrl:0 
	;;#ASMEND
	;;#ASMSTART
	v_add_f32 v0, v2, v0 row_shl:2 bound_ctrl:0 
	;;#ASMEND
	;;#ASMSTART
	v_add_f32 v24, v26, v24 row_shl:2 bound_ctrl:0 
	;;#ASMEND
	;;#ASMSTART
	v_add_f32 v56, v58, v56 row_shl:2 bound_ctrl:0 
	;;#ASMEND
	;;#ASMSTART
	v_add_f32 v40, v42, v40 row_shl:2 bound_ctrl:0 
	;;#ASMEND
	;;#ASMSTART
	v_add_f32 v48, v49, v48 row_shl:1 bound_ctrl:0 
	;;#ASMEND
	s_nop 0
	;; [unrolled: 19-line block ×6, first 2 shown]
	;;#ASMSTART
	v_add_f32 v8, v15, v8 row_shl:11 bound_ctrl:0 
	;;#ASMEND
	ds_bpermute_b32 v2, v103, v8 offset:208
	;;#ASMSTART
	v_add_f32 v24, v31, v24 row_shl:11 bound_ctrl:0 
	;;#ASMEND
	ds_bpermute_b32 v4, v103, v24 offset:208
	;; [unrolled: 4-line block ×3, first 2 shown]
	s_waitcnt lgkmcnt(0)
	v_add_f32_e32 v2, v8, v2
	;;#ASMSTART
	v_add_f32 v40, v47, v40 row_shl:11 bound_ctrl:0 
	;;#ASMEND
	ds_bpermute_b32 v8, v103, v40 offset:208
	;;#ASMSTART
	v_add_f32 v16, v19, v16 row_shl:3 bound_ctrl:0 
	;;#ASMEND
	;;#ASMSTART
	v_add_f32 v48, v51, v48 row_shl:3 bound_ctrl:0 
	;;#ASMEND
	;; [unrolled: 3-line block ×3, first 2 shown]
	v_add_f32_e32 v4, v24, v4
	;;#ASMSTART
	v_add_f32 v16, v20, v16 row_shl:8 bound_ctrl:0 
	;;#ASMEND
	;;#ASMSTART
	v_add_f32 v48, v52, v48 row_shl:8 bound_ctrl:0 
	;;#ASMEND
	;; [unrolled: 3-line block ×3, first 2 shown]
	v_add_f32_e32 v6, v56, v6
	;;#ASMSTART
	v_add_f32 v16, v21, v16 row_shl:9 bound_ctrl:0 
	;;#ASMEND
	;;#ASMSTART
	v_add_f32 v48, v53, v48 row_shl:9 bound_ctrl:0 
	;;#ASMEND
	;; [unrolled: 3-line block ×3, first 2 shown]
	s_waitcnt lgkmcnt(0)
	v_add_f32_e32 v8, v40, v8
	;;#ASMSTART
	v_add_f32 v16, v22, v16 row_shl:10 bound_ctrl:0 
	;;#ASMEND
	;;#ASMSTART
	v_add_f32 v48, v54, v48 row_shl:10 bound_ctrl:0 
	;;#ASMEND
	;; [unrolled: 3-line block ×4, first 2 shown]
	ds_bpermute_b32 v1, v103, v0 offset:144
	ds_bpermute_b32 v2, v103, v2 offset:64
	;;#ASMSTART
	v_add_f32 v16, v23, v16 row_shl:11 bound_ctrl:0 
	;;#ASMEND
	ds_bpermute_b32 v3, v103, v16 offset:144
	ds_bpermute_b32 v4, v103, v4 offset:64
	;;#ASMSTART
	v_add_f32 v48, v55, v48 row_shl:11 bound_ctrl:0 
	;;#ASMEND
	;; [unrolled: 5-line block ×3, first 2 shown]
	ds_bpermute_b32 v7, v103, v32 offset:144
	ds_bpermute_b32 v8, v103, v8 offset:64
	s_and_saveexec_b64 s[4:5], s[0:1]
	s_cbranch_execz .LBB34_6
; %bb.22:                               ;   in Loop: Header=BB34_7 Depth=1
	s_waitcnt lgkmcnt(7)
	v_add_f32_e32 v0, v0, v1
	s_waitcnt lgkmcnt(5)
	v_add_f32_e32 v3, v16, v3
	v_add_f32_e32 v0, v0, v2
	s_waitcnt lgkmcnt(4)
	v_add_f32_e32 v3, v3, v4
	v_mul_f32_e32 v0, s11, v0
	s_waitcnt lgkmcnt(3)
	v_add_f32_e32 v5, v48, v5
	v_fma_mixlo_f16 v2, s22, v0, 0
	v_mov_b32_e32 v97, v99
	v_mul_f32_e32 v3, s11, v3
	s_waitcnt lgkmcnt(2)
	v_add_f32_e32 v5, v5, v6
	v_lshl_add_u64 v[0:1], v[96:97], 1, s[14:15]
	v_fma_mixhi_f16 v2, s22, v3, 0
	s_waitcnt lgkmcnt(1)
	v_add_f32_e32 v7, v32, v7
	global_store_dword v[0:1], v2, off
	v_add_u32_e32 v98, s10, v96
	v_mul_f32_e32 v0, s11, v5
	s_waitcnt lgkmcnt(0)
	v_add_f32_e32 v7, v7, v8
	v_fma_mixlo_f16 v2, s22, v0, 0
	v_lshl_add_u64 v[0:1], v[98:99], 1, s[14:15]
	global_store_short v[0:1], v2, off
	v_mul_f32_e32 v0, s11, v7
	v_add_u32_e32 v98, 1, v98
	v_fma_mixlo_f16 v2, s22, v0, 0
	v_lshl_add_u64 v[0:1], v[98:99], 1, s[14:15]
	global_store_short v[0:1], v2, off
	s_branch .LBB34_6
.LBB34_23:
	s_endpgm
	.section	.rodata,"a",@progbits
	.p2align	6, 0x0
	.amdhsa_kernel _Z17wvSplitKQ_hf_sml_I6__halfN3c1013Float8_e4m3fnELi64ELi2ELi16ELi16ELi2ELi2EEviiiPKT0_S5_PT_PKfS9_ii
		.amdhsa_group_segment_fixed_size 65536
		.amdhsa_private_segment_fixed_size 0
		.amdhsa_kernarg_size 64
		.amdhsa_user_sgpr_count 2
		.amdhsa_user_sgpr_dispatch_ptr 0
		.amdhsa_user_sgpr_queue_ptr 0
		.amdhsa_user_sgpr_kernarg_segment_ptr 1
		.amdhsa_user_sgpr_dispatch_id 0
		.amdhsa_user_sgpr_kernarg_preload_length 0
		.amdhsa_user_sgpr_kernarg_preload_offset 0
		.amdhsa_user_sgpr_private_segment_size 0
		.amdhsa_uses_dynamic_stack 0
		.amdhsa_enable_private_segment 0
		.amdhsa_system_sgpr_workgroup_id_x 1
		.amdhsa_system_sgpr_workgroup_id_y 0
		.amdhsa_system_sgpr_workgroup_id_z 0
		.amdhsa_system_sgpr_workgroup_info 0
		.amdhsa_system_vgpr_workitem_id 1
		.amdhsa_next_free_vgpr 105
		.amdhsa_next_free_sgpr 25
		.amdhsa_accum_offset 108
		.amdhsa_reserve_vcc 1
		.amdhsa_float_round_mode_32 0
		.amdhsa_float_round_mode_16_64 0
		.amdhsa_float_denorm_mode_32 3
		.amdhsa_float_denorm_mode_16_64 3
		.amdhsa_dx10_clamp 1
		.amdhsa_ieee_mode 1
		.amdhsa_fp16_overflow 0
		.amdhsa_tg_split 0
		.amdhsa_exception_fp_ieee_invalid_op 0
		.amdhsa_exception_fp_denorm_src 0
		.amdhsa_exception_fp_ieee_div_zero 0
		.amdhsa_exception_fp_ieee_overflow 0
		.amdhsa_exception_fp_ieee_underflow 0
		.amdhsa_exception_fp_ieee_inexact 0
		.amdhsa_exception_int_div_zero 0
	.end_amdhsa_kernel
	.section	.text._Z17wvSplitKQ_hf_sml_I6__halfN3c1013Float8_e4m3fnELi64ELi2ELi16ELi16ELi2ELi2EEviiiPKT0_S5_PT_PKfS9_ii,"axG",@progbits,_Z17wvSplitKQ_hf_sml_I6__halfN3c1013Float8_e4m3fnELi64ELi2ELi16ELi16ELi2ELi2EEviiiPKT0_S5_PT_PKfS9_ii,comdat
.Lfunc_end34:
	.size	_Z17wvSplitKQ_hf_sml_I6__halfN3c1013Float8_e4m3fnELi64ELi2ELi16ELi16ELi2ELi2EEviiiPKT0_S5_PT_PKfS9_ii, .Lfunc_end34-_Z17wvSplitKQ_hf_sml_I6__halfN3c1013Float8_e4m3fnELi64ELi2ELi16ELi16ELi2ELi2EEviiiPKT0_S5_PT_PKfS9_ii
                                        ; -- End function
	.section	.AMDGPU.csdata,"",@progbits
; Kernel info:
; codeLenInByte = 2148
; NumSgprs: 31
; NumVgprs: 105
; NumAgprs: 0
; TotalNumVgprs: 105
; ScratchSize: 0
; MemoryBound: 1
; FloatMode: 240
; IeeeMode: 1
; LDSByteSize: 65536 bytes/workgroup (compile time only)
; SGPRBlocks: 3
; VGPRBlocks: 13
; NumSGPRsForWavesPerEU: 31
; NumVGPRsForWavesPerEU: 105
; AccumOffset: 108
; Occupancy: 4
; WaveLimiterHint : 0
; COMPUTE_PGM_RSRC2:SCRATCH_EN: 0
; COMPUTE_PGM_RSRC2:USER_SGPR: 2
; COMPUTE_PGM_RSRC2:TRAP_HANDLER: 0
; COMPUTE_PGM_RSRC2:TGID_X_EN: 1
; COMPUTE_PGM_RSRC2:TGID_Y_EN: 0
; COMPUTE_PGM_RSRC2:TGID_Z_EN: 0
; COMPUTE_PGM_RSRC2:TIDIG_COMP_CNT: 1
; COMPUTE_PGM_RSRC3_GFX90A:ACCUM_OFFSET: 26
; COMPUTE_PGM_RSRC3_GFX90A:TG_SPLIT: 0
	.section	.text._Z13wvSplitKQ_hf_I6__halfN3c1013Float8_e4m3fnELi64ELi2ELi16ELi16ELi2ELi2EEviiiPKT0_S5_PT_PKfS9_ii,"axG",@progbits,_Z13wvSplitKQ_hf_I6__halfN3c1013Float8_e4m3fnELi64ELi2ELi16ELi16ELi2ELi2EEviiiPKT0_S5_PT_PKfS9_ii,comdat
	.protected	_Z13wvSplitKQ_hf_I6__halfN3c1013Float8_e4m3fnELi64ELi2ELi16ELi16ELi2ELi2EEviiiPKT0_S5_PT_PKfS9_ii ; -- Begin function _Z13wvSplitKQ_hf_I6__halfN3c1013Float8_e4m3fnELi64ELi2ELi16ELi16ELi2ELi2EEviiiPKT0_S5_PT_PKfS9_ii
	.globl	_Z13wvSplitKQ_hf_I6__halfN3c1013Float8_e4m3fnELi64ELi2ELi16ELi16ELi2ELi2EEviiiPKT0_S5_PT_PKfS9_ii
	.p2align	8
	.type	_Z13wvSplitKQ_hf_I6__halfN3c1013Float8_e4m3fnELi64ELi2ELi16ELi16ELi2ELi2EEviiiPKT0_S5_PT_PKfS9_ii,@function
_Z13wvSplitKQ_hf_I6__halfN3c1013Float8_e4m3fnELi64ELi2ELi16ELi16ELi2ELi2EEviiiPKT0_S5_PT_PKfS9_ii: ; @_Z13wvSplitKQ_hf_I6__halfN3c1013Float8_e4m3fnELi64ELi2ELi16ELi16ELi2ELi2EEviiiPKT0_S5_PT_PKfS9_ii
; %bb.0:
	s_load_dwordx4 s[12:15], s[0:1], 0x0
	s_load_dwordx2 s[10:11], s[0:1], 0x18
	s_load_dwordx4 s[4:7], s[0:1], 0x28
	v_bfe_u32 v1, v0, 10, 10
	v_and_b32_e32 v0, 0x3ff, v0
	v_lshlrev_b32_e32 v100, 4, v0
	s_waitcnt lgkmcnt(0)
	s_lshl_b32 s3, s12, 1
	v_lshl_add_u32 v2, v1, 10, v100
	s_min_i32 s3, s3, 0x10000
	v_cmp_gt_u32_e32 vcc, s3, v2
	s_and_saveexec_b64 s[8:9], vcc
	s_cbranch_execz .LBB35_3
; %bb.1:
	s_mov_b64 s[16:17], 0
.LBB35_2:                               ; =>This Inner Loop Header: Depth=1
	global_load_dwordx4 v[4:7], v2, s[10:11]
	s_waitcnt vmcnt(0)
	ds_write_b128 v2, v[4:7]
	v_add_u32_e32 v2, 0x4000, v2
	v_cmp_le_u32_e32 vcc, s3, v2
	s_or_b64 s[16:17], vcc, s[16:17]
	s_andn2_b64 exec, exec, s[16:17]
	s_cbranch_execnz .LBB35_2
.LBB35_3:
	s_or_b64 exec, exec, s[8:9]
	s_load_dwordx2 s[8:9], s[0:1], 0x38
	s_waitcnt lgkmcnt(0)
	s_barrier
	v_cmp_gt_u32_e32 vcc, s8, v1
	s_and_saveexec_b64 s[16:17], vcc
	s_cbranch_execz .LBB35_46
; %bb.4:
	s_mul_i32 s2, s2, s8
	v_add_u32_e32 v1, s2, v1
	v_lshlrev_b32_e32 v96, 1, v1
	v_cmp_gt_u32_e32 vcc, s14, v96
	s_and_b64 exec, exec, vcc
	s_cbranch_execz .LBB35_46
; %bb.5:
	s_load_dword s15, s[4:5], 0x0
	s_load_dword s28, s[6:7], 0x0
	s_load_dwordx2 s[16:17], s[0:1], 0x10
	s_load_dwordx2 s[18:19], s[0:1], 0x20
	s_cmp_lg_u32 s12, 0
	v_cmp_eq_u32_e64 s[0:1], 0, v0
	s_cselect_b64 s[2:3], -1, 0
	v_mul_lo_u32 v0, s13, v1
	v_lshl_add_u32 v102, v0, 1, v100
	v_cndmask_b32_e64 v0, 0, 1, s[2:3]
	v_cmp_ne_u32_e64 s[2:3], 1, v0
	v_mbcnt_lo_u32_b32 v0, -1, 0
	s_mul_i32 s4, s8, s9
	v_mbcnt_hi_u32_b32 v0, -1, v0
	s_lshl_b32 s29, s4, 1
	s_mul_i32 s4, s4, s13
	v_lshlrev_b32_e32 v0, 2, v0
	s_ashr_i32 s21, s13, 31
	s_mov_b32 s20, s13
	v_add_u32_e32 v101, s12, v100
	s_lshl_b32 s13, s4, 1
	s_mov_b64 s[22:23], 0
	v_mov_b32_e32 v99, 0
	s_mov_b32 s30, 0xffff
	v_and_b32_e32 v103, 0x100, v0
                                        ; implicit-def: $vgpr68_vgpr69_vgpr70_vgpr71
                                        ; implicit-def: $vgpr76_vgpr77_vgpr78_vgpr79
                                        ; implicit-def: $vgpr64_vgpr65_vgpr66_vgpr67
                                        ; implicit-def: $vgpr72_vgpr73_vgpr74_vgpr75
                                        ; implicit-def: $vgpr90_vgpr91
                                        ; implicit-def: $vgpr94_vgpr95
                                        ; implicit-def: $vgpr82_vgpr83
                                        ; implicit-def: $vgpr86_vgpr87
	s_branch .LBB35_7
.LBB35_6:                               ;   in Loop: Header=BB35_7 Depth=1
	s_or_b64 exec, exec, s[4:5]
	v_add_u32_e32 v96, s29, v96
	v_cmp_le_u32_e32 vcc, s14, v96
	s_or_b64 s[22:23], vcc, s[22:23]
	v_add_u32_e32 v102, s13, v102
	s_andn2_b64 exec, exec, s[22:23]
	s_cbranch_execz .LBB35_46
.LBB35_7:                               ; =>This Loop Header: Depth=1
                                        ;     Child Loop BB35_11 Depth 2
	v_or_b32_e32 v104, 1, v96
	s_and_b64 vcc, exec, s[2:3]
	v_cmp_gt_u32_e64 s[4:5], s14, v104
	s_cbranch_vccnz .LBB35_40
; %bb.8:                                ;   in Loop: Header=BB35_7 Depth=1
	v_mov_b32_e32 v0, 0
	s_mov_b32 s31, 0
	s_waitcnt lgkmcnt(0)
	v_mov_b32_e32 v1, v0
	v_mov_b32_e32 v2, v0
	;; [unrolled: 1-line block ×63, first 2 shown]
	s_branch .LBB35_11
.LBB35_9:                               ;   in Loop: Header=BB35_11 Depth=2
	s_or_b64 exec, exec, s[8:9]
.LBB35_10:                              ;   in Loop: Header=BB35_11 Depth=2
	s_or_b64 exec, exec, s[6:7]
	s_addk_i32 s31, 0x800
	s_cmp_ge_u32 s31, s12
	s_cbranch_scc1 .LBB35_41
.LBB35_11:                              ;   Parent Loop BB35_7 Depth=1
                                        ; =>  This Inner Loop Header: Depth=2
	v_add_u32_e32 v97, s31, v100
	v_cmp_gt_u32_e32 vcc, s12, v97
	s_and_saveexec_b64 s[24:25], vcc
	s_cbranch_execz .LBB35_37
; %bb.12:                               ;   in Loop: Header=BB35_11 Depth=2
	v_add_u32_e32 v98, s31, v102
	s_waitcnt lgkmcnt(0)
	global_load_dwordx4 v[72:75], v98, s[16:17] nt
	s_and_saveexec_b64 s[6:7], s[4:5]
	s_cbranch_execz .LBB35_14
; %bb.13:                               ;   in Loop: Header=BB35_11 Depth=2
	s_waitcnt vmcnt(1)
	v_lshl_add_u64 v[76:77], s[16:17], 0, v[98:99]
	v_lshl_add_u64 v[76:77], v[76:77], 0, s[20:21]
	global_load_dwordx4 v[76:79], v[76:77], off nt
.LBB35_14:                              ;   in Loop: Header=BB35_11 Depth=2
	s_or_b64 exec, exec, s[6:7]
	v_add_u32_e32 v105, 0x400, v97
	v_cmp_gt_u32_e64 s[6:7], s12, v105
	s_and_saveexec_b64 s[8:9], s[6:7]
	s_cbranch_execz .LBB35_18
; %bb.15:                               ;   in Loop: Header=BB35_11 Depth=2
	v_add_u32_e32 v98, 0x400, v98
	global_load_dwordx4 v[64:67], v98, s[16:17] nt
	s_and_saveexec_b64 s[26:27], s[4:5]
	s_cbranch_execz .LBB35_17
; %bb.16:                               ;   in Loop: Header=BB35_11 Depth=2
	s_waitcnt vmcnt(2)
	v_lshl_add_u64 v[68:69], s[16:17], 0, v[98:99]
	v_lshl_add_u64 v[68:69], v[68:69], 0, s[20:21]
	global_load_dwordx4 v[68:71], v[68:69], off nt
.LBB35_17:                              ;   in Loop: Header=BB35_11 Depth=2
	s_or_b64 exec, exec, s[26:27]
.LBB35_18:                              ;   in Loop: Header=BB35_11 Depth=2
	s_or_b64 exec, exec, s[8:9]
	v_cmp_lt_u32_e64 s[8:9], s30, v97
                                        ; implicit-def: $vgpr84_vgpr85
	s_and_saveexec_b64 s[26:27], s[8:9]
	s_xor_b64 s[8:9], exec, s[26:27]
	s_cbranch_execz .LBB35_20
; %bb.19:                               ;   in Loop: Header=BB35_11 Depth=2
	global_load_dwordx4 v[84:87], v97, s[10:11]
.LBB35_20:                              ;   in Loop: Header=BB35_11 Depth=2
	s_andn2_saveexec_b64 s[8:9], s[8:9]
	s_cbranch_execz .LBB35_22
; %bb.21:                               ;   in Loop: Header=BB35_11 Depth=2
	s_waitcnt vmcnt(0)
	ds_read_b128 v[84:87], v97
.LBB35_22:                              ;   in Loop: Header=BB35_11 Depth=2
	s_or_b64 exec, exec, s[8:9]
	v_add_u32_e32 v98, s31, v101
	v_cmp_lt_u32_e64 s[8:9], s30, v98
                                        ; implicit-def: $vgpr92_vgpr93
	s_and_saveexec_b64 s[26:27], s[8:9]
	s_xor_b64 s[8:9], exec, s[26:27]
	s_cbranch_execnz .LBB35_25
; %bb.23:                               ;   in Loop: Header=BB35_11 Depth=2
	s_andn2_saveexec_b64 s[8:9], s[8:9]
	s_cbranch_execnz .LBB35_26
.LBB35_24:                              ;   in Loop: Header=BB35_11 Depth=2
	s_or_b64 exec, exec, s[8:9]
	s_and_saveexec_b64 s[8:9], s[6:7]
	s_cbranch_execnz .LBB35_27
	s_branch .LBB35_36
.LBB35_25:                              ;   in Loop: Header=BB35_11 Depth=2
	global_load_dwordx4 v[92:95], v98, s[10:11]
	s_andn2_saveexec_b64 s[8:9], s[8:9]
	s_cbranch_execz .LBB35_24
.LBB35_26:                              ;   in Loop: Header=BB35_11 Depth=2
	s_waitcnt vmcnt(0)
	ds_read_b128 v[92:95], v98
	s_or_b64 exec, exec, s[8:9]
	s_and_saveexec_b64 s[8:9], s[6:7]
	s_cbranch_execz .LBB35_36
.LBB35_27:                              ;   in Loop: Header=BB35_11 Depth=2
	v_cmp_lt_u32_e64 s[6:7], s30, v105
                                        ; implicit-def: $vgpr80_vgpr81
	s_and_saveexec_b64 s[26:27], s[6:7]
	s_xor_b64 s[6:7], exec, s[26:27]
	s_cbranch_execz .LBB35_29
; %bb.28:                               ;   in Loop: Header=BB35_11 Depth=2
	global_load_dwordx4 v[80:83], v105, s[10:11]
.LBB35_29:                              ;   in Loop: Header=BB35_11 Depth=2
	s_andn2_saveexec_b64 s[6:7], s[6:7]
	s_cbranch_execz .LBB35_31
; %bb.30:                               ;   in Loop: Header=BB35_11 Depth=2
	s_waitcnt vmcnt(0)
	ds_read_b128 v[80:83], v97 offset:1024
.LBB35_31:                              ;   in Loop: Header=BB35_11 Depth=2
	s_or_b64 exec, exec, s[6:7]
	s_waitcnt vmcnt(1)
	v_add_u32_e32 v90, 0x400, v98
	v_cmp_lt_u32_e64 s[6:7], s30, v90
                                        ; implicit-def: $vgpr88_vgpr89
	s_and_saveexec_b64 s[26:27], s[6:7]
	s_xor_b64 s[6:7], exec, s[26:27]
	s_cbranch_execz .LBB35_33
; %bb.32:                               ;   in Loop: Header=BB35_11 Depth=2
	global_load_dwordx4 v[88:91], v90, s[10:11]
                                        ; implicit-def: $vgpr98
.LBB35_33:                              ;   in Loop: Header=BB35_11 Depth=2
	s_andn2_saveexec_b64 s[6:7], s[6:7]
	s_cbranch_execz .LBB35_35
; %bb.34:                               ;   in Loop: Header=BB35_11 Depth=2
	s_waitcnt vmcnt(0)
	ds_read_b128 v[88:91], v98 offset:1024
.LBB35_35:                              ;   in Loop: Header=BB35_11 Depth=2
	s_or_b64 exec, exec, s[6:7]
.LBB35_36:                              ;   in Loop: Header=BB35_11 Depth=2
	s_or_b64 exec, exec, s[8:9]
.LBB35_37:                              ;   in Loop: Header=BB35_11 Depth=2
	s_or_b64 exec, exec, s[24:25]
	s_and_saveexec_b64 s[6:7], vcc
	s_cbranch_execz .LBB35_10
; %bb.38:                               ;   in Loop: Header=BB35_11 Depth=2
	s_waitcnt vmcnt(0) lgkmcnt(0)
	v_mfma_f32_32x32x16_fp8_fp8 v[48:63], v[84:85], v[72:73], v[48:63]
	v_add_u32_e32 v97, 0x400, v97
	v_cmp_gt_u32_e32 vcc, s12, v97
	v_mfma_f32_32x32x16_fp8_fp8 v[32:47], v[84:85], v[76:77], v[32:47]
	v_mfma_f32_32x32x16_fp8_fp8 v[16:31], v[92:93], v[72:73], v[16:31]
	;; [unrolled: 1-line block ×7, first 2 shown]
	s_and_saveexec_b64 s[8:9], vcc
	s_cbranch_execz .LBB35_9
; %bb.39:                               ;   in Loop: Header=BB35_11 Depth=2
	v_mfma_f32_32x32x16_fp8_fp8 v[48:63], v[80:81], v[64:65], v[48:63]
	v_mfma_f32_32x32x16_fp8_fp8 v[32:47], v[80:81], v[68:69], v[32:47]
	;; [unrolled: 1-line block ×8, first 2 shown]
	s_branch .LBB35_9
.LBB35_40:                              ;   in Loop: Header=BB35_7 Depth=1
	v_mov_b32_e32 v63, v99
	v_mov_b32_e32 v62, v99
	;; [unrolled: 1-line block ×13, first 2 shown]
	s_waitcnt lgkmcnt(0)
	v_mov_b32_e32 v50, v99
	v_mov_b32_e32 v49, v99
	;; [unrolled: 1-line block ×51, first 2 shown]
.LBB35_41:                              ;   in Loop: Header=BB35_7 Depth=1
	;;#ASMSTART
	v_add_f32 v56, v57, v56 row_shl:1 bound_ctrl:0 
	;;#ASMEND
	;;#ASMSTART
	v_add_f32 v40, v41, v40 row_shl:1 bound_ctrl:0 
	;;#ASMEND
	;;#ASMSTART
	v_add_f32 v24, v25, v24 row_shl:1 bound_ctrl:0 
	;;#ASMEND
	;;#ASMSTART
	v_add_f32 v8, v9, v8 row_shl:1 bound_ctrl:0 
	;;#ASMEND
	;;#ASMSTART
	v_add_f32 v48, v49, v48 row_shl:1 bound_ctrl:0 
	;;#ASMEND
	;;#ASMSTART
	v_add_f32 v32, v33, v32 row_shl:1 bound_ctrl:0 
	;;#ASMEND
	s_nop 0
	;;#ASMSTART
	v_add_f32 v56, v58, v56 row_shl:2 bound_ctrl:0 
	;;#ASMEND
	;;#ASMSTART
	v_add_f32 v40, v42, v40 row_shl:2 bound_ctrl:0 
	;;#ASMEND
	;;#ASMSTART
	v_add_f32 v24, v26, v24 row_shl:2 bound_ctrl:0 
	;;#ASMEND
	;;#ASMSTART
	v_add_f32 v8, v10, v8 row_shl:2 bound_ctrl:0 
	;;#ASMEND
	;;#ASMSTART
	v_add_f32 v16, v17, v16 row_shl:1 bound_ctrl:0 
	;;#ASMEND
	;;#ASMSTART
	v_add_f32 v0, v1, v0 row_shl:1 bound_ctrl:0 
	;;#ASMEND
	s_nop 0
	;; [unrolled: 19-line block ×6, first 2 shown]
	;;#ASMSTART
	v_add_f32 v56, v63, v56 row_shl:11 bound_ctrl:0 
	;;#ASMEND
	ds_bpermute_b32 v50, v103, v56 offset:208
	;;#ASMSTART
	v_add_f32 v40, v47, v40 row_shl:11 bound_ctrl:0 
	;;#ASMEND
	ds_bpermute_b32 v34, v103, v40 offset:208
	;; [unrolled: 4-line block ×4, first 2 shown]
	;;#ASMSTART
	v_add_f32 v48, v52, v48 row_shl:8 bound_ctrl:0 
	;;#ASMEND
	;;#ASMSTART
	v_add_f32 v32, v36, v32 row_shl:8 bound_ctrl:0 
	;;#ASMEND
	;; [unrolled: 3-line block ×4, first 2 shown]
	s_waitcnt lgkmcnt(0)
	v_add_f32_e32 v50, v56, v50
	;;#ASMSTART
	v_add_f32 v48, v53, v48 row_shl:9 bound_ctrl:0 
	;;#ASMEND
	;;#ASMSTART
	v_add_f32 v32, v37, v32 row_shl:9 bound_ctrl:0 
	;;#ASMEND
	;; [unrolled: 3-line block ×4, first 2 shown]
	v_add_f32_e32 v34, v40, v34
	;;#ASMSTART
	v_add_f32 v48, v54, v48 row_shl:10 bound_ctrl:0 
	;;#ASMEND
	;;#ASMSTART
	v_add_f32 v32, v38, v32 row_shl:10 bound_ctrl:0 
	;;#ASMEND
	;; [unrolled: 3-line block ×3, first 2 shown]
	v_add_f32_e32 v18, v24, v18
	;;#ASMSTART
	v_add_f32 v0, v6, v0 row_shl:10 bound_ctrl:0 
	;;#ASMEND
	v_add_f32_e32 v2, v8, v2
	;;#ASMSTART
	v_add_f32 v48, v55, v48 row_shl:11 bound_ctrl:0 
	;;#ASMEND
	ds_bpermute_b32 v49, v103, v48 offset:144
	ds_bpermute_b32 v50, v103, v50 offset:64
	;;#ASMSTART
	v_add_f32 v32, v39, v32 row_shl:11 bound_ctrl:0 
	;;#ASMEND
	ds_bpermute_b32 v33, v103, v32 offset:144
	ds_bpermute_b32 v34, v103, v34 offset:64
	;; [unrolled: 5-line block ×4, first 2 shown]
	s_and_saveexec_b64 s[4:5], s[0:1]
	s_cbranch_execz .LBB35_6
; %bb.42:                               ;   in Loop: Header=BB35_7 Depth=1
	s_waitcnt lgkmcnt(7)
	v_add_f32_e32 v2, v48, v49
	s_waitcnt lgkmcnt(6)
	v_add_f32_e32 v2, v2, v50
	v_mul_f32_e32 v2, s15, v2
	v_mov_b32_e32 v97, v99
	v_fma_mixlo_f16 v5, s28, v2, 0
	v_lshl_add_u64 v[2:3], v[96:97], 1, s[18:19]
	v_cmp_gt_u32_e32 vcc, s14, v104
	global_store_short v[2:3], v5, off
	s_and_saveexec_b64 s[6:7], vcc
	s_cbranch_execz .LBB35_44
; %bb.43:                               ;   in Loop: Header=BB35_7 Depth=1
	s_waitcnt lgkmcnt(5)
	v_add_f32_e32 v5, v32, v33
	s_waitcnt lgkmcnt(4)
	v_add_f32_e32 v5, v5, v34
	v_mul_f32_e32 v5, s15, v5
	v_fma_mixlo_f16 v5, s28, v5, 0
	global_store_short v[2:3], v5, off offset:2
.LBB35_44:                              ;   in Loop: Header=BB35_7 Depth=1
	s_or_b64 exec, exec, s[6:7]
	s_waitcnt lgkmcnt(3)
	v_add_f32_e32 v2, v16, v17
	s_waitcnt lgkmcnt(2)
	v_add_f32_e32 v2, v2, v18
	v_mul_f32_e32 v2, s15, v2
	v_add_u32_e32 v98, s14, v96
	v_fma_mixlo_f16 v5, s28, v2, 0
	v_lshl_add_u64 v[2:3], v[98:99], 1, s[18:19]
	global_store_short v[2:3], v5, off
	s_and_b64 exec, exec, vcc
	s_cbranch_execz .LBB35_6
; %bb.45:                               ;   in Loop: Header=BB35_7 Depth=1
	s_waitcnt lgkmcnt(1)
	v_add_f32_e32 v0, v0, v1
	s_waitcnt lgkmcnt(0)
	v_add_f32_e32 v0, v0, v4
	v_mul_f32_e32 v0, s15, v0
	v_add_u32_e32 v98, s14, v104
	v_fma_mixlo_f16 v2, s28, v0, 0
	v_lshl_add_u64 v[0:1], v[98:99], 1, s[18:19]
	global_store_short v[0:1], v2, off
	s_branch .LBB35_6
.LBB35_46:
	s_endpgm
	.section	.rodata,"a",@progbits
	.p2align	6, 0x0
	.amdhsa_kernel _Z13wvSplitKQ_hf_I6__halfN3c1013Float8_e4m3fnELi64ELi2ELi16ELi16ELi2ELi2EEviiiPKT0_S5_PT_PKfS9_ii
		.amdhsa_group_segment_fixed_size 65536
		.amdhsa_private_segment_fixed_size 0
		.amdhsa_kernarg_size 64
		.amdhsa_user_sgpr_count 2
		.amdhsa_user_sgpr_dispatch_ptr 0
		.amdhsa_user_sgpr_queue_ptr 0
		.amdhsa_user_sgpr_kernarg_segment_ptr 1
		.amdhsa_user_sgpr_dispatch_id 0
		.amdhsa_user_sgpr_kernarg_preload_length 0
		.amdhsa_user_sgpr_kernarg_preload_offset 0
		.amdhsa_user_sgpr_private_segment_size 0
		.amdhsa_uses_dynamic_stack 0
		.amdhsa_enable_private_segment 0
		.amdhsa_system_sgpr_workgroup_id_x 1
		.amdhsa_system_sgpr_workgroup_id_y 0
		.amdhsa_system_sgpr_workgroup_id_z 0
		.amdhsa_system_sgpr_workgroup_info 0
		.amdhsa_system_vgpr_workitem_id 1
		.amdhsa_next_free_vgpr 106
		.amdhsa_next_free_sgpr 32
		.amdhsa_accum_offset 108
		.amdhsa_reserve_vcc 1
		.amdhsa_float_round_mode_32 0
		.amdhsa_float_round_mode_16_64 0
		.amdhsa_float_denorm_mode_32 3
		.amdhsa_float_denorm_mode_16_64 3
		.amdhsa_dx10_clamp 1
		.amdhsa_ieee_mode 1
		.amdhsa_fp16_overflow 0
		.amdhsa_tg_split 0
		.amdhsa_exception_fp_ieee_invalid_op 0
		.amdhsa_exception_fp_denorm_src 0
		.amdhsa_exception_fp_ieee_div_zero 0
		.amdhsa_exception_fp_ieee_overflow 0
		.amdhsa_exception_fp_ieee_underflow 0
		.amdhsa_exception_fp_ieee_inexact 0
		.amdhsa_exception_int_div_zero 0
	.end_amdhsa_kernel
	.section	.text._Z13wvSplitKQ_hf_I6__halfN3c1013Float8_e4m3fnELi64ELi2ELi16ELi16ELi2ELi2EEviiiPKT0_S5_PT_PKfS9_ii,"axG",@progbits,_Z13wvSplitKQ_hf_I6__halfN3c1013Float8_e4m3fnELi64ELi2ELi16ELi16ELi2ELi2EEviiiPKT0_S5_PT_PKfS9_ii,comdat
.Lfunc_end35:
	.size	_Z13wvSplitKQ_hf_I6__halfN3c1013Float8_e4m3fnELi64ELi2ELi16ELi16ELi2ELi2EEviiiPKT0_S5_PT_PKfS9_ii, .Lfunc_end35-_Z13wvSplitKQ_hf_I6__halfN3c1013Float8_e4m3fnELi64ELi2ELi16ELi16ELi2ELi2EEviiiPKT0_S5_PT_PKfS9_ii
                                        ; -- End function
	.section	.AMDGPU.csdata,"",@progbits
; Kernel info:
; codeLenInByte = 2328
; NumSgprs: 38
; NumVgprs: 106
; NumAgprs: 0
; TotalNumVgprs: 106
; ScratchSize: 0
; MemoryBound: 1
; FloatMode: 240
; IeeeMode: 1
; LDSByteSize: 65536 bytes/workgroup (compile time only)
; SGPRBlocks: 4
; VGPRBlocks: 13
; NumSGPRsForWavesPerEU: 38
; NumVGPRsForWavesPerEU: 106
; AccumOffset: 108
; Occupancy: 4
; WaveLimiterHint : 0
; COMPUTE_PGM_RSRC2:SCRATCH_EN: 0
; COMPUTE_PGM_RSRC2:USER_SGPR: 2
; COMPUTE_PGM_RSRC2:TRAP_HANDLER: 0
; COMPUTE_PGM_RSRC2:TGID_X_EN: 1
; COMPUTE_PGM_RSRC2:TGID_Y_EN: 0
; COMPUTE_PGM_RSRC2:TGID_Z_EN: 0
; COMPUTE_PGM_RSRC2:TIDIG_COMP_CNT: 1
; COMPUTE_PGM_RSRC3_GFX90A:ACCUM_OFFSET: 26
; COMPUTE_PGM_RSRC3_GFX90A:TG_SPLIT: 0
	.section	.text._Z17wvSplitKQ_hf_sml_I6__halfN3c1013Float8_e4m3fnELi64ELi4ELi16ELi16ELi1ELi3EEviiiPKT0_S5_PT_PKfS9_ii,"axG",@progbits,_Z17wvSplitKQ_hf_sml_I6__halfN3c1013Float8_e4m3fnELi64ELi4ELi16ELi16ELi1ELi3EEviiiPKT0_S5_PT_PKfS9_ii,comdat
	.protected	_Z17wvSplitKQ_hf_sml_I6__halfN3c1013Float8_e4m3fnELi64ELi4ELi16ELi16ELi1ELi3EEviiiPKT0_S5_PT_PKfS9_ii ; -- Begin function _Z17wvSplitKQ_hf_sml_I6__halfN3c1013Float8_e4m3fnELi64ELi4ELi16ELi16ELi1ELi3EEviiiPKT0_S5_PT_PKfS9_ii
	.globl	_Z17wvSplitKQ_hf_sml_I6__halfN3c1013Float8_e4m3fnELi64ELi4ELi16ELi16ELi1ELi3EEviiiPKT0_S5_PT_PKfS9_ii
	.p2align	8
	.type	_Z17wvSplitKQ_hf_sml_I6__halfN3c1013Float8_e4m3fnELi64ELi4ELi16ELi16ELi1ELi3EEviiiPKT0_S5_PT_PKfS9_ii,@function
_Z17wvSplitKQ_hf_sml_I6__halfN3c1013Float8_e4m3fnELi64ELi4ELi16ELi16ELi1ELi3EEviiiPKT0_S5_PT_PKfS9_ii: ; @_Z17wvSplitKQ_hf_sml_I6__halfN3c1013Float8_e4m3fnELi64ELi4ELi16ELi16ELi1ELi3EEviiiPKT0_S5_PT_PKfS9_ii
; %bb.0:
	s_load_dwordx4 s[4:7], s[0:1], 0x0
	s_load_dwordx4 s[8:11], s[0:1], 0x28
	v_bfe_u32 v1, v0, 10, 10
	v_and_b32_e32 v0, 0x3ff, v0
	v_lshlrev_b32_e32 v2, 4, v0
	s_waitcnt lgkmcnt(0)
	s_mul_i32 s3, s4, 3
	scratch_store_dword off, v2, off offset:704 ; 4-byte Folded Spill
	v_lshl_add_u32 v2, v1, 10, v2
	s_min_i32 s3, s3, 0x10000
	v_cmp_gt_u32_e32 vcc, s3, v2
	s_and_saveexec_b64 s[12:13], vcc
	s_cbranch_execz .LBB36_3
; %bb.1:
	s_load_dwordx2 s[14:15], s[0:1], 0x18
	s_mov_b64 s[16:17], 0
.LBB36_2:                               ; =>This Inner Loop Header: Depth=1
	s_waitcnt lgkmcnt(0)
	global_load_dwordx4 v[4:7], v2, s[14:15]
	s_waitcnt vmcnt(0)
	ds_write_b128 v2, v[4:7]
	v_add_u32_e32 v2, 0x4000, v2
	v_cmp_le_u32_e32 vcc, s3, v2
	s_or_b64 s[16:17], vcc, s[16:17]
	s_andn2_b64 exec, exec, s[16:17]
	s_cbranch_execnz .LBB36_2
.LBB36_3:
	s_or_b64 exec, exec, s[12:13]
	s_load_dwordx2 s[16:17], s[0:1], 0x38
	s_waitcnt lgkmcnt(0)
	s_barrier
	v_cmp_gt_u32_e32 vcc, s16, v1
	s_and_saveexec_b64 s[12:13], vcc
	s_cbranch_execz .LBB36_16
; %bb.4:
	s_mul_i32 s2, s2, s16
	v_add_u32_e32 v1, s2, v1
	v_lshlrev_b32_e32 v18, 2, v1
	v_cmp_gt_u32_e32 vcc, s6, v18
	s_and_b64 exec, exec, vcc
	s_cbranch_execz .LBB36_16
; %bb.5:
	s_load_dword s7, s[8:9], 0x0
	s_load_dword s22, s[10:11], 0x0
	s_load_dwordx2 s[12:13], s[0:1], 0x10
	s_load_dwordx2 s[14:15], s[0:1], 0x20
	scratch_load_dword v2, off, off offset:704 ; 4-byte Folded Reload
	v_cmp_eq_u32_e64 s[0:1], 0, v0
	s_cmp_lg_u32 s4, 0
	s_cselect_b64 s[2:3], -1, 0
	s_mul_i32 s18, s16, s17
	s_mov_b32 s9, 0
	s_lshl_b32 s23, s18, 2
	s_mul_i32 s18, s18, s5
	s_mov_b32 s8, s5
	s_lshl_b32 s10, s5, 1
	s_mov_b32 s11, s9
	s_mul_i32 s16, s5, 3
	s_mov_b32 s17, s9
	v_mov_b32_e32 v125, 0
	s_waitcnt vmcnt(0)
	v_lshl_add_u32 v0, s4, 1, v2
	scratch_store_dword off, v0, off offset:712 ; 4-byte Folded Spill
	v_add_u32_e32 v0, s4, v2
	scratch_store_dword off, v0, off offset:716 ; 4-byte Folded Spill
	v_mul_lo_u32 v0, s5, v1
	v_lshl_add_u32 v0, v0, 2, v2
	scratch_store_dword off, v0, off offset:708 ; 4-byte Folded Spill
	v_cndmask_b32_e64 v0, 0, 1, s[2:3]
	v_cmp_ne_u32_e64 s[2:3], 1, v0
	v_mbcnt_lo_u32_b32 v0, -1, 0
	v_mbcnt_hi_u32_b32 v0, -1, v0
	v_lshlrev_b32_e32 v0, 2, v0
	s_lshl_b32 s5, s18, 2
	s_mov_b64 s[18:19], 0
	v_and_b32_e32 v126, 0x100, v0
	s_branch .LBB36_7
.LBB36_6:                               ;   in Loop: Header=BB36_7 Depth=1
	s_or_b64 exec, exec, s[20:21]
	scratch_load_dword v0, off, off offset:708 ; 4-byte Folded Reload
	s_waitcnt vmcnt(1)
	v_add_u32_e32 v18, s23, v18
	v_cmp_le_u32_e32 vcc, s6, v18
	s_or_b64 s[18:19], vcc, s[18:19]
	s_waitcnt vmcnt(0)
	v_add_u32_e32 v0, s5, v0
	scratch_store_dword off, v0, off offset:708 ; 4-byte Folded Spill
	s_andn2_b64 exec, exec, s[18:19]
	s_cbranch_execz .LBB36_16
.LBB36_7:                               ; =>This Loop Header: Depth=1
                                        ;     Child Loop BB36_9 Depth 2
	scratch_store_dwordx2 off, v[18:19], off offset:720 ; 8-byte Folded Spill
	s_waitcnt lgkmcnt(0)
	v_mov_b32_e32 v15, v125
	v_mov_b32_e32 v14, v125
	;; [unrolled: 1-line block ×32, first 2 shown]
	scratch_store_dwordx4 off, v[0:3], off offset:128 ; 16-byte Folded Spill
	s_nop 0
	scratch_store_dwordx4 off, v[4:7], off offset:144 ; 16-byte Folded Spill
	scratch_store_dwordx4 off, v[8:11], off offset:160 ; 16-byte Folded Spill
	scratch_store_dwordx4 off, v[12:15], off offset:176 ; 16-byte Folded Spill
	scratch_store_dwordx4 off, v[16:19], off offset:192 ; 16-byte Folded Spill
	s_nop 0
	scratch_store_dwordx4 off, v[20:23], off offset:208 ; 16-byte Folded Spill
	scratch_store_dwordx4 off, v[24:27], off offset:224 ; 16-byte Folded Spill
	scratch_store_dwordx4 off, v[28:31], off offset:240 ; 16-byte Folded Spill
	;; [unrolled: 5-line block ×3, first 2 shown]
	s_and_b64 vcc, exec, s[2:3]
	v_mov_b32_e32 v79, v125
	v_mov_b32_e32 v78, v125
	;; [unrolled: 1-line block ×80, first 2 shown]
	scratch_store_dwordx4 off, v[16:19], off offset:320 ; 16-byte Folded Spill
	s_nop 0
	scratch_store_dwordx4 off, v[20:23], off offset:336 ; 16-byte Folded Spill
	scratch_store_dwordx4 off, v[24:27], off offset:352 ; 16-byte Folded Spill
	;; [unrolled: 1-line block ×4, first 2 shown]
	s_nop 0
	scratch_store_dwordx4 off, v[20:23], off offset:400 ; 16-byte Folded Spill
	scratch_store_dwordx4 off, v[24:27], off offset:416 ; 16-byte Folded Spill
	scratch_store_dwordx4 off, v[28:31], off offset:432 ; 16-byte Folded Spill
	s_cbranch_vccnz .LBB36_14
; %bb.8:                                ;   in Loop: Header=BB36_7 Depth=1
	v_mov_b32_e32 v16, 0
	v_mov_b32_e32 v0, v16
	;; [unrolled: 1-line block ×17, first 2 shown]
	scratch_store_dwordx4 off, v[0:3], off offset:384 ; 16-byte Folded Spill
	s_nop 0
	scratch_store_dwordx4 off, v[4:7], off offset:400 ; 16-byte Folded Spill
	scratch_store_dwordx4 off, v[8:11], off offset:416 ; 16-byte Folded Spill
	;; [unrolled: 1-line block ×4, first 2 shown]
	s_nop 0
	scratch_store_dwordx4 off, v[4:7], off offset:336 ; 16-byte Folded Spill
	scratch_store_dwordx4 off, v[8:11], off offset:352 ; 16-byte Folded Spill
	;; [unrolled: 1-line block ×3, first 2 shown]
	s_mov_b32 s24, 0
	v_mov_b32_e32 v17, v16
	v_mov_b32_e32 v18, v16
	;; [unrolled: 1-line block ×79, first 2 shown]
	scratch_store_dwordx4 off, v[0:3], off offset:256 ; 16-byte Folded Spill
	s_nop 0
	scratch_store_dwordx4 off, v[4:7], off offset:272 ; 16-byte Folded Spill
	scratch_store_dwordx4 off, v[8:11], off offset:288 ; 16-byte Folded Spill
	scratch_store_dwordx4 off, v[12:15], off offset:304 ; 16-byte Folded Spill
	scratch_store_dwordx4 off, v[0:3], off offset:192 ; 16-byte Folded Spill
	s_nop 0
	scratch_store_dwordx4 off, v[4:7], off offset:208 ; 16-byte Folded Spill
	scratch_store_dwordx4 off, v[8:11], off offset:224 ; 16-byte Folded Spill
	scratch_store_dwordx4 off, v[12:15], off offset:240 ; 16-byte Folded Spill
	;; [unrolled: 5-line block ×5, first 2 shown]
.LBB36_9:                               ;   Parent Loop BB36_7 Depth=1
                                        ; =>  This Inner Loop Header: Depth=2
	scratch_store_dwordx4 off, v[48:51], off offset:640 ; 16-byte Folded Spill
	s_nop 0
	scratch_store_dwordx4 off, v[52:55], off offset:656 ; 16-byte Folded Spill
	scratch_store_dwordx4 off, v[56:59], off offset:672 ; 16-byte Folded Spill
	scratch_store_dwordx4 off, v[60:63], off offset:688 ; 16-byte Folded Spill
	scratch_store_dwordx4 off, v[0:3], off offset:576 ; 16-byte Folded Spill
	s_nop 0
	scratch_store_dwordx4 off, v[4:7], off offset:592 ; 16-byte Folded Spill
	scratch_store_dwordx4 off, v[8:11], off offset:608 ; 16-byte Folded Spill
	scratch_store_dwordx4 off, v[12:15], off offset:624 ; 16-byte Folded Spill
	;; [unrolled: 5-line block ×3, first 2 shown]
	s_waitcnt vmcnt(12)
	scratch_store_dwordx4 off, v[80:83], off ; 16-byte Folded Spill
	s_nop 0
	scratch_store_dwordx4 off, v[84:87], off offset:16 ; 16-byte Folded Spill
	scratch_store_dwordx4 off, v[88:91], off offset:32 ; 16-byte Folded Spill
	;; [unrolled: 1-line block ×3, first 2 shown]
	scratch_load_dword v64, off, off offset:704 ; 4-byte Folded Reload
	s_waitcnt vmcnt(0)
	v_add_u32_e32 v93, s24, v64
	v_mov_b64_e32 v[64:65], 0
	v_cmp_gt_u32_e32 vcc, s4, v93
	v_mov_b64_e32 v[66:67], v[64:65]
	v_mov_b64_e32 v[84:85], v[64:65]
	;; [unrolled: 1-line block ×13, first 2 shown]
	s_and_saveexec_b64 s[20:21], vcc
	s_cbranch_execz .LBB36_11
; %bb.10:                               ;   in Loop: Header=BB36_9 Depth=2
	scratch_load_dword v64, off, off offset:708 ; 4-byte Folded Reload
	s_waitcnt vmcnt(0)
	v_add_u32_e32 v124, s24, v64
	s_waitcnt lgkmcnt(0)
	v_lshl_add_u64 v[64:65], s[12:13], 0, v[124:125]
	v_lshl_add_u64 v[66:67], v[64:65], 0, s[8:9]
	v_lshl_add_u64 v[68:69], v[64:65], 0, s[10:11]
	v_lshl_add_u64 v[64:65], v[64:65], 0, s[16:17]
	global_load_dwordx4 v[80:83], v124, s[12:13] nt
	global_load_dwordx4 v[76:79], v[66:67], off nt
	global_load_dwordx4 v[72:75], v[68:69], off nt
	ds_read_b128 v[88:91], v93
	global_load_dwordx4 v[68:71], v[64:65], off nt
	s_nop 0
	scratch_load_dword v64, off, off offset:716 ; 4-byte Folded Reload
	scratch_load_dword v65, off, off offset:712 ; 4-byte Folded Reload
	s_waitcnt vmcnt(1)
	v_add_u32_e32 v64, s24, v64
	s_waitcnt vmcnt(0)
	v_add_u32_e32 v65, s24, v65
	ds_read_b128 v[84:87], v64
	ds_read_b128 v[64:67], v65
.LBB36_11:                              ;   in Loop: Header=BB36_9 Depth=2
	s_or_b64 exec, exec, s[20:21]
	scratch_load_dwordx4 v[92:95], off, off offset:64 ; 16-byte Folded Reload
	scratch_load_dwordx4 v[96:99], off, off offset:80 ; 16-byte Folded Reload
	;; [unrolled: 1-line block ×12, first 2 shown]
	scratch_load_dwordx4 v[32:35], off, off ; 16-byte Folded Reload
	scratch_load_dwordx4 v[36:39], off, off offset:16 ; 16-byte Folded Reload
	scratch_load_dwordx4 v[40:43], off, off offset:32 ; 16-byte Folded Reload
	;; [unrolled: 1-line block ×3, first 2 shown]
	s_waitcnt lgkmcnt(0)
	v_mfma_f32_32x32x16_fp8_fp8 v[16:31], v[64:65], v[68:69], v[16:31]
	s_addk_i32 s24, 0x400
	s_cmp_ge_u32 s24, s4
	v_mfma_f32_32x32x16_fp8_fp8 v[16:31], v[66:67], v[70:71], v[16:31]
	s_waitcnt vmcnt(12)
	v_mfma_f32_32x32x16_fp8_fp8 v[92:107], v[88:89], v[80:81], v[92:107]
	s_waitcnt vmcnt(8)
	;; [unrolled: 2-line block ×4, first 2 shown]
	v_mfma_f32_32x32x16_fp8_fp8 v[32:47], v[88:89], v[68:69], v[32:47]
	v_mfma_f32_32x32x16_fp8_fp8 v[92:107], v[90:91], v[82:83], v[92:107]
	s_nop 7
	s_nop 2
	scratch_store_dwordx4 off, v[92:95], off offset:64 ; 16-byte Folded Spill
	s_nop 0
	scratch_store_dwordx4 off, v[96:99], off offset:80 ; 16-byte Folded Spill
	scratch_store_dwordx4 off, v[100:103], off offset:96 ; 16-byte Folded Spill
	scratch_store_dwordx4 off, v[104:107], off offset:112 ; 16-byte Folded Spill
	v_mfma_f32_32x32x16_fp8_fp8 v[108:123], v[90:91], v[78:79], v[108:123]
	s_nop 7
	s_nop 2
	scratch_store_dwordx4 off, v[108:111], off offset:448 ; 16-byte Folded Spill
	s_nop 0
	scratch_store_dwordx4 off, v[112:115], off offset:464 ; 16-byte Folded Spill
	scratch_store_dwordx4 off, v[116:119], off offset:480 ; 16-byte Folded Spill
	scratch_store_dwordx4 off, v[120:123], off offset:496 ; 16-byte Folded Spill
	;; [unrolled: 8-line block ×3, first 2 shown]
	v_mfma_f32_32x32x16_fp8_fp8 v[32:47], v[90:91], v[70:71], v[32:47]
	s_nop 7
	s_nop 2
	scratch_store_dwordx4 off, v[32:35], off ; 16-byte Folded Spill
	s_nop 0
	scratch_store_dwordx4 off, v[36:39], off offset:16 ; 16-byte Folded Spill
	scratch_store_dwordx4 off, v[40:43], off offset:32 ; 16-byte Folded Spill
	;; [unrolled: 1-line block ×3, first 2 shown]
	scratch_load_dwordx4 v[32:35], off, off offset:512 ; 16-byte Folded Reload
	s_nop 0
	scratch_load_dwordx4 v[36:39], off, off offset:528 ; 16-byte Folded Reload
	scratch_load_dwordx4 v[40:43], off, off offset:544 ; 16-byte Folded Reload
	;; [unrolled: 1-line block ×15, first 2 shown]
	s_waitcnt vmcnt(4)
	v_mfma_f32_32x32x16_fp8_fp8 v[88:103], v[84:85], v[72:73], v[88:103]
	s_waitcnt vmcnt(0)
	v_mfma_f32_32x32x16_fp8_fp8 v[48:63], v[84:85], v[68:69], v[48:63]
	v_mfma_f32_32x32x16_fp8_fp8 v[88:103], v[86:87], v[74:75], v[88:103]
	s_nop 7
	s_nop 2
	scratch_store_dwordx4 off, v[88:91], off offset:192 ; 16-byte Folded Spill
	s_nop 0
	scratch_store_dwordx4 off, v[92:95], off offset:208 ; 16-byte Folded Spill
	scratch_store_dwordx4 off, v[96:99], off offset:224 ; 16-byte Folded Spill
	;; [unrolled: 1-line block ×3, first 2 shown]
	v_mfma_f32_32x32x16_fp8_fp8 v[32:47], v[84:85], v[80:81], v[32:47]
	v_mfma_f32_32x32x16_fp8_fp8 v[0:15], v[84:85], v[76:77], v[0:15]
	;; [unrolled: 1-line block ×5, first 2 shown]
	s_nop 7
	s_nop 0
	v_mov_b64_e32 v[98:99], v[62:63]
	v_mov_b64_e32 v[96:97], v[60:61]
	;; [unrolled: 1-line block ×8, first 2 shown]
	scratch_load_dwordx4 v[48:51], off, off offset:640 ; 16-byte Folded Reload
	scratch_load_dwordx4 v[52:55], off, off offset:656 ; 16-byte Folded Reload
	;; [unrolled: 1-line block ×8, first 2 shown]
	s_waitcnt vmcnt(0)
	v_mfma_f32_32x32x16_fp8_fp8 v[100:115], v[64:65], v[76:77], v[100:115]
	v_mfma_f32_32x32x16_fp8_fp8 v[100:115], v[66:67], v[78:79], v[100:115]
	s_nop 7
	s_nop 2
	scratch_store_dwordx4 off, v[100:103], off offset:320 ; 16-byte Folded Spill
	s_nop 0
	scratch_store_dwordx4 off, v[104:107], off offset:336 ; 16-byte Folded Spill
	scratch_store_dwordx4 off, v[108:111], off offset:352 ; 16-byte Folded Spill
	;; [unrolled: 1-line block ×3, first 2 shown]
	scratch_load_dwordx4 v[100:103], off, off offset:384 ; 16-byte Folded Reload
	s_nop 0
	scratch_load_dwordx4 v[104:107], off, off offset:400 ; 16-byte Folded Reload
	scratch_load_dwordx4 v[108:111], off, off offset:416 ; 16-byte Folded Reload
	;; [unrolled: 1-line block ×3, first 2 shown]
	v_mfma_f32_32x32x16_fp8_fp8 v[48:63], v[64:65], v[80:81], v[48:63]
	s_waitcnt vmcnt(0)
	v_mfma_f32_32x32x16_fp8_fp8 v[100:115], v[64:65], v[72:73], v[100:115]
	v_mfma_f32_32x32x16_fp8_fp8 v[48:63], v[66:67], v[82:83], v[48:63]
	;; [unrolled: 1-line block ×3, first 2 shown]
	s_nop 7
	s_nop 2
	scratch_store_dwordx4 off, v[100:103], off offset:384 ; 16-byte Folded Spill
	s_nop 0
	scratch_store_dwordx4 off, v[104:107], off offset:400 ; 16-byte Folded Spill
	scratch_store_dwordx4 off, v[108:111], off offset:416 ; 16-byte Folded Spill
	;; [unrolled: 1-line block ×4, first 2 shown]
	s_nop 0
	scratch_store_dwordx4 off, v[88:91], off offset:272 ; 16-byte Folded Spill
	scratch_store_dwordx4 off, v[92:95], off offset:288 ; 16-byte Folded Spill
	;; [unrolled: 1-line block ×3, first 2 shown]
	s_cbranch_scc1 .LBB36_13
; %bb.12:                               ;   in Loop: Header=BB36_9 Depth=2
	scratch_load_dwordx4 v[80:83], off, off ; 16-byte Folded Reload
	scratch_load_dwordx4 v[84:87], off, off offset:16 ; 16-byte Folded Reload
	scratch_load_dwordx4 v[88:91], off, off offset:32 ; 16-byte Folded Reload
	;; [unrolled: 1-line block ×3, first 2 shown]
	s_branch .LBB36_9
.LBB36_13:                              ;   in Loop: Header=BB36_7 Depth=1
	scratch_load_dwordx4 v[64:67], off, off offset:64 ; 16-byte Folded Reload
	scratch_load_dwordx4 v[68:71], off, off offset:80 ; 16-byte Folded Reload
	;; [unrolled: 1-line block ×8, first 2 shown]
	scratch_load_dwordx4 v[104:107], off, off ; 16-byte Folded Reload
	scratch_load_dwordx4 v[108:111], off, off offset:16 ; 16-byte Folded Reload
	scratch_load_dwordx4 v[112:115], off, off offset:32 ; 16-byte Folded Reload
	;; [unrolled: 1-line block ×3, first 2 shown]
.LBB36_14:                              ;   in Loop: Header=BB36_7 Depth=1
	s_waitcnt vmcnt(11)
	;;#ASMSTART
	v_add_f32 v64, v65, v64 row_shl:1 bound_ctrl:0 
	;;#ASMEND
	s_waitcnt vmcnt(9)
	;;#ASMSTART
	v_add_f32 v72, v73, v72 row_shl:1 bound_ctrl:0 
	;;#ASMEND
	;; [unrolled: 4-line block ×4, first 2 shown]
	;;#ASMSTART
	v_add_f32 v104, v105, v104 row_shl:1 bound_ctrl:0 
	;;#ASMEND
	;;#ASMSTART
	v_add_f32 v88, v89, v88 row_shl:1 bound_ctrl:0 
	;;#ASMEND
	;; [unrolled: 3-line block ×5, first 2 shown]
	s_nop 0
	;;#ASMSTART
	v_add_f32 v112, v114, v112 row_shl:2 bound_ctrl:0 
	;;#ASMEND
	;;#ASMSTART
	v_add_f32 v104, v106, v104 row_shl:2 bound_ctrl:0 
	;;#ASMEND
	;; [unrolled: 3-line block ×6, first 2 shown]
	s_nop 0
	;;#ASMSTART
	v_add_f32 v112, v115, v112 row_shl:3 bound_ctrl:0 
	;;#ASMEND
	;;#ASMSTART
	v_add_f32 v104, v107, v104 row_shl:3 bound_ctrl:0 
	;;#ASMEND
	;; [unrolled: 3-line block ×6, first 2 shown]
	s_waitcnt vmcnt(0)
	;;#ASMSTART
	v_add_f32 v112, v116, v112 row_shl:8 bound_ctrl:0 
	;;#ASMEND
	;;#ASMSTART
	v_add_f32 v104, v108, v104 row_shl:8 bound_ctrl:0 
	;;#ASMEND
	;; [unrolled: 3-line block ×6, first 2 shown]
	s_nop 0
	;;#ASMSTART
	v_add_f32 v112, v117, v112 row_shl:9 bound_ctrl:0 
	;;#ASMEND
	;;#ASMSTART
	v_add_f32 v104, v109, v104 row_shl:9 bound_ctrl:0 
	;;#ASMEND
	;; [unrolled: 3-line block ×6, first 2 shown]
	s_nop 0
	;;#ASMSTART
	v_add_f32 v112, v118, v112 row_shl:10 bound_ctrl:0 
	;;#ASMEND
	;;#ASMSTART
	v_add_f32 v88, v93, v88 row_shl:9 bound_ctrl:0 
	;;#ASMEND
	;; [unrolled: 3-line block ×5, first 2 shown]
	scratch_store_dwordx4 off, v[64:67], off offset:64 ; 16-byte Folded Spill
	s_nop 0
	scratch_store_dwordx4 off, v[68:71], off offset:80 ; 16-byte Folded Spill
	scratch_store_dwordx4 off, v[72:75], off offset:96 ; 16-byte Folded Spill
	;; [unrolled: 1-line block ×3, first 2 shown]
	;;#ASMSTART
	v_add_f32 v96, v103, v96 row_shl:11 bound_ctrl:0 
	;;#ASMEND
	ds_bpermute_b32 v65, v126, v96 offset:208
	;;#ASMSTART
	v_add_f32 v112, v119, v112 row_shl:11 bound_ctrl:0 
	;;#ASMEND
	ds_bpermute_b32 v67, v126, v112 offset:208
	;;#ASMSTART
	v_add_f32 v32, v34, v32 row_shl:2 bound_ctrl:0 
	;;#ASMEND
	;;#ASMSTART
	v_add_f32 v88, v94, v88 row_shl:10 bound_ctrl:0 
	;;#ASMEND
	;; [unrolled: 3-line block ×3, first 2 shown]
	s_waitcnt lgkmcnt(0)
	v_add_f32_e32 v65, v96, v65
	;;#ASMSTART
	v_add_f32 v32, v35, v32 row_shl:3 bound_ctrl:0 
	;;#ASMEND
	;;#ASMSTART
	v_add_f32 v88, v95, v88 row_shl:11 bound_ctrl:0 
	;;#ASMEND
	v_add_f32_e32 v67, v112, v67
	;;#ASMSTART
	v_add_f32 v32, v36, v32 row_shl:8 bound_ctrl:0 
	;;#ASMEND
	v_mov_b32_e32 v36, v104
	;;#ASMSTART
	v_add_f32 v56, v57, v56 row_shl:1 bound_ctrl:0 
	;;#ASMEND
	;;#ASMSTART
	v_add_f32 v48, v49, v48 row_shl:1 bound_ctrl:0 
	;;#ASMEND
	;; [unrolled: 3-line block ×3, first 2 shown]
	ds_bpermute_b32 v89, v126, v65 offset:64
	;;#ASMSTART
	v_add_f32 v56, v58, v56 row_shl:2 bound_ctrl:0 
	;;#ASMEND
	;;#ASMSTART
	v_add_f32 v48, v50, v48 row_shl:2 bound_ctrl:0 
	;;#ASMEND
	;;#ASMSTART
	v_add_f32 v24, v25, v24 row_shl:1 bound_ctrl:0 
	;;#ASMEND
	;;#ASMSTART
	v_add_f32 v8, v9, v8 row_shl:1 bound_ctrl:0 
	;;#ASMEND
	;;#ASMSTART
	v_add_f32 v0, v2, v0 row_shl:2 bound_ctrl:0 
	;;#ASMEND
	;;#ASMSTART
	v_add_f32 v16, v17, v16 row_shl:1 bound_ctrl:0 
	;;#ASMEND
	s_nop 0
	;;#ASMSTART
	v_add_f32 v56, v59, v56 row_shl:3 bound_ctrl:0 
	;;#ASMEND
	;;#ASMSTART
	v_add_f32 v48, v51, v48 row_shl:3 bound_ctrl:0 
	;;#ASMEND
	;;#ASMSTART
	v_add_f32 v24, v26, v24 row_shl:2 bound_ctrl:0 
	;;#ASMEND
	;;#ASMSTART
	v_add_f32 v8, v10, v8 row_shl:2 bound_ctrl:0 
	;;#ASMEND
	;;#ASMSTART
	v_add_f32 v0, v3, v0 row_shl:3 bound_ctrl:0 
	;;#ASMEND
	;;#ASMSTART
	v_add_f32 v16, v18, v16 row_shl:2 bound_ctrl:0 
	;;#ASMEND
	s_nop 0
	;; [unrolled: 19-line block ×5, first 2 shown]
	;;#ASMSTART
	v_add_f32 v56, v63, v56 row_shl:11 bound_ctrl:0 
	;;#ASMEND
	ds_bpermute_b32 v1, v126, v56 offset:208
	;;#ASMSTART
	v_add_f32 v48, v55, v48 row_shl:11 bound_ctrl:0 
	;;#ASMEND
	;;#ASMSTART
	v_add_f32 v24, v30, v24 row_shl:10 bound_ctrl:0 
	;;#ASMEND
	;; [unrolled: 3-line block ×4, first 2 shown]
	s_waitcnt lgkmcnt(0)
	v_add_f32_e32 v1, v56, v1
	;;#ASMSTART
	v_add_f32 v24, v31, v24 row_shl:11 bound_ctrl:0 
	;;#ASMEND
	ds_bpermute_b32 v4, v126, v24 offset:208
	;;#ASMSTART
	v_add_f32 v8, v15, v8 row_shl:11 bound_ctrl:0 
	;;#ASMEND
	ds_bpermute_b32 v69, v126, v8 offset:208
	v_mov_b32_e32 v34, v0
	ds_bpermute_b32 v33, v126, v1 offset:64
	s_waitcnt lgkmcnt(2)
	v_add_f32_e32 v4, v24, v4
	;;#ASMSTART
	v_add_f32 v16, v21, v16 row_shl:9 bound_ctrl:0 
	;;#ASMEND
	s_waitcnt lgkmcnt(1)
	v_add_f32_e32 v69, v8, v69
	ds_bpermute_b32 v21, v126, v4 offset:64
	;;#ASMSTART
	v_add_f32 v40, v41, v40 row_shl:1 bound_ctrl:0 
	;;#ASMEND
	;;#ASMSTART
	v_add_f32 v32, v38, v32 row_shl:10 bound_ctrl:0 
	;;#ASMEND
	;; [unrolled: 3-line block ×3, first 2 shown]
	ds_bpermute_b32 v67, v126, v67 offset:64
	;;#ASMSTART
	v_add_f32 v40, v42, v40 row_shl:2 bound_ctrl:0 
	;;#ASMEND
	;;#ASMSTART
	v_add_f32 v32, v39, v32 row_shl:11 bound_ctrl:0 
	;;#ASMEND
	ds_bpermute_b32 v69, v126, v69 offset:64
	;;#ASMSTART
	v_add_f32 v40, v43, v40 row_shl:3 bound_ctrl:0 
	;;#ASMEND
	;;#ASMSTART
	v_add_f32 v16, v23, v16 row_shl:11 bound_ctrl:0 
	;;#ASMEND
	ds_bpermute_b32 v17, v126, v16 offset:144
	;;#ASMSTART
	v_add_f32 v40, v44, v40 row_shl:8 bound_ctrl:0 
	;;#ASMEND
	ds_bpermute_b32 v64, v126, v72 offset:208
	;;#ASMSTART
	v_add_f32 v40, v45, v40 row_shl:9 bound_ctrl:0 
	;;#ASMEND
	s_waitcnt lgkmcnt(0)
	v_add_f32_e32 v64, v72, v64
	scratch_load_dwordx4 v[72:75], off, off offset:128 ; 16-byte Folded Reload
	scratch_load_dwordx4 v[76:79], off, off offset:144 ; 16-byte Folded Reload
	;; [unrolled: 1-line block ×12, first 2 shown]
	ds_bpermute_b32 v124, v126, v64 offset:64
	scratch_load_dwordx4 v[50:53], off, off offset:320 ; 16-byte Folded Reload
	scratch_load_dwordx4 v[54:57], off, off offset:336 ; 16-byte Folded Reload
	;; [unrolled: 1-line block ×4, first 2 shown]
	;;#ASMSTART
	v_add_f32 v40, v46, v40 row_shl:10 bound_ctrl:0 
	;;#ASMEND
	s_waitcnt vmcnt(5)
	;;#ASMSTART
	v_add_f32 v98, v99, v98 row_shl:1 bound_ctrl:0 
	;;#ASMEND
	s_nop 0
	;;#ASMSTART
	v_add_f32 v98, v100, v98 row_shl:2 bound_ctrl:0 
	;;#ASMEND
	;;#ASMSTART
	v_add_f32 v90, v91, v90 row_shl:1 bound_ctrl:0 
	;;#ASMEND
	s_waitcnt vmcnt(1)
	;;#ASMSTART
	v_add_f32 v58, v59, v58 row_shl:1 bound_ctrl:0 
	;;#ASMEND
	;;#ASMSTART
	v_add_f32 v80, v81, v80 row_shl:1 bound_ctrl:0 
	;;#ASMEND
	;; [unrolled: 3-line block ×6, first 2 shown]
	s_nop 0
	;;#ASMSTART
	v_add_f32 v58, v60, v58 row_shl:2 bound_ctrl:0 
	;;#ASMEND
	;;#ASMSTART
	v_add_f32 v80, v82, v80 row_shl:2 bound_ctrl:0 
	;;#ASMEND
	;; [unrolled: 3-line block ×6, first 2 shown]
	s_nop 0
	;;#ASMSTART
	v_add_f32 v58, v61, v58 row_shl:3 bound_ctrl:0 
	;;#ASMEND
	;;#ASMSTART
	v_add_f32 v80, v83, v80 row_shl:3 bound_ctrl:0 
	;;#ASMEND
	;; [unrolled: 3-line block ×3, first 2 shown]
	ds_bpermute_b32 v68, v126, v40 offset:208
	;;#ASMSTART
	v_add_f32 v98, v103, v98 row_shl:9 bound_ctrl:0 
	;;#ASMEND
	;;#ASMSTART
	v_add_f32 v90, v94, v90 row_shl:8 bound_ctrl:0 
	;;#ASMEND
	s_waitcnt vmcnt(0)
	;;#ASMSTART
	v_add_f32 v58, v62, v58 row_shl:8 bound_ctrl:0 
	;;#ASMEND
	;;#ASMSTART
	v_add_f32 v80, v84, v80 row_shl:8 bound_ctrl:0 
	;;#ASMEND
	;; [unrolled: 3-line block ×6, first 2 shown]
	s_nop 0
	;;#ASMSTART
	v_add_f32 v58, v63, v58 row_shl:9 bound_ctrl:0 
	;;#ASMEND
	;;#ASMSTART
	v_add_f32 v80, v85, v80 row_shl:9 bound_ctrl:0 
	;;#ASMEND
	;; [unrolled: 3-line block ×5, first 2 shown]
	ds_bpermute_b32 v71, v126, v98 offset:208
	;;#ASMSTART
	v_add_f32 v90, v96, v90 row_shl:10 bound_ctrl:0 
	;;#ASMEND
	;;#ASMSTART
	v_add_f32 v58, v64, v58 row_shl:10 bound_ctrl:0 
	;;#ASMEND
	;; [unrolled: 3-line block ×4, first 2 shown]
	s_waitcnt lgkmcnt(0)
	v_add_f32_e32 v71, v98, v71
	;;#ASMSTART
	v_add_f32 v90, v97, v90 row_shl:11 bound_ctrl:0 
	;;#ASMEND
	scratch_load_dwordx4 v[92:95], off, off offset:384 ; 16-byte Folded Reload
	scratch_load_dwordx4 v[96:99], off, off offset:400 ; 16-byte Folded Reload
	;; [unrolled: 1-line block ×4, first 2 shown]
	;;#ASMSTART
	v_add_f32 v58, v65, v58 row_shl:11 bound_ctrl:0 
	;;#ASMEND
	ds_bpermute_b32 v2, v126, v58 offset:208
	;;#ASMSTART
	v_add_f32 v80, v87, v80 row_shl:11 bound_ctrl:0 
	;;#ASMEND
	ds_bpermute_b32 v66, v126, v80 offset:208
	;; [unrolled: 4-line block ×3, first 2 shown]
	s_waitcnt lgkmcnt(2)
	v_add_f32_e32 v2, v58, v2
	ds_bpermute_b32 v35, v126, v2 offset:64
	;;#ASMSTART
	v_add_f32 v72, v74, v72 row_shl:2 bound_ctrl:0 
	;;#ASMEND
	;;#ASMSTART
	v_add_f32 v108, v110, v108 row_shl:2 bound_ctrl:0 
	;;#ASMEND
	;;#ASMSTART
	v_add_f32 v50, v52, v50 row_shl:2 bound_ctrl:0 
	;;#ASMEND
	s_waitcnt lgkmcnt(2)
	v_add_f32_e32 v66, v80, v66
	;;#ASMSTART
	v_add_f32 v72, v75, v72 row_shl:3 bound_ctrl:0 
	;;#ASMEND
	;;#ASMSTART
	v_add_f32 v108, v111, v108 row_shl:3 bound_ctrl:0 
	;;#ASMEND
	;; [unrolled: 3-line block ×3, first 2 shown]
	v_add_f32_e32 v68, v40, v68
	;;#ASMSTART
	v_add_f32 v72, v76, v72 row_shl:8 bound_ctrl:0 
	;;#ASMEND
	s_waitcnt vmcnt(1)
	;;#ASMSTART
	v_add_f32 v100, v101, v100 row_shl:1 bound_ctrl:0 
	;;#ASMEND
	s_nop 0
	;;#ASMSTART
	v_add_f32 v100, v102, v100 row_shl:2 bound_ctrl:0 
	;;#ASMEND
	;;#ASMSTART
	v_add_f32 v92, v93, v92 row_shl:1 bound_ctrl:0 
	;;#ASMEND
	;;#ASMSTART
	v_add_f32 v108, v112, v108 row_shl:8 bound_ctrl:0 
	;;#ASMEND
	;;#ASMSTART
	v_add_f32 v50, v54, v50 row_shl:8 bound_ctrl:0 
	;;#ASMEND
	;;#ASMSTART
	v_add_f32 v72, v77, v72 row_shl:9 bound_ctrl:0 
	;;#ASMEND
	s_waitcnt lgkmcnt(1)
	v_add_f32_e32 v70, v116, v70
	;;#ASMSTART
	v_add_f32 v100, v103, v100 row_shl:3 bound_ctrl:0 
	;;#ASMEND
	;;#ASMSTART
	v_add_f32 v92, v94, v92 row_shl:2 bound_ctrl:0 
	;;#ASMEND
	;; [unrolled: 3-line block ×5, first 2 shown]
	ds_bpermute_b32 v66, v126, v66 offset:64
	s_waitcnt vmcnt(0)
	;;#ASMSTART
	v_add_f32 v100, v104, v100 row_shl:8 bound_ctrl:0 
	;;#ASMEND
	;;#ASMSTART
	v_add_f32 v92, v95, v92 row_shl:3 bound_ctrl:0 
	;;#ASMEND
	;; [unrolled: 3-line block ×5, first 2 shown]
	ds_bpermute_b32 v68, v126, v68 offset:64
	;;#ASMSTART
	v_add_f32 v100, v105, v100 row_shl:9 bound_ctrl:0 
	;;#ASMEND
	;;#ASMSTART
	v_add_f32 v92, v96, v92 row_shl:8 bound_ctrl:0 
	;;#ASMEND
	;; [unrolled: 3-line block ×3, first 2 shown]
	ds_bpermute_b32 v70, v126, v70 offset:64
	;;#ASMSTART
	v_add_f32 v100, v106, v100 row_shl:10 bound_ctrl:0 
	;;#ASMEND
	;;#ASMSTART
	v_add_f32 v92, v97, v92 row_shl:9 bound_ctrl:0 
	;;#ASMEND
	ds_bpermute_b32 v71, v126, v71 offset:64
	;;#ASMSTART
	v_add_f32 v100, v107, v100 row_shl:11 bound_ctrl:0 
	;;#ASMEND
	ds_bpermute_b32 v3, v126, v100 offset:208
	;;#ASMSTART
	v_add_f32 v92, v98, v92 row_shl:10 bound_ctrl:0 
	;;#ASMEND
	;;#ASMSTART
	v_add_f32 v50, v57, v50 row_shl:11 bound_ctrl:0 
	;;#ASMEND
	v_mov_b32_e32 v20, v72
	;;#ASMSTART
	v_add_f32 v92, v99, v92 row_shl:11 bound_ctrl:0 
	;;#ASMEND
	s_waitcnt lgkmcnt(0)
	v_add_f32_e32 v3, v100, v3
	ds_bpermute_b32 v37, v126, v3 offset:64
	scratch_load_dwordx4 v[0:3], off, off offset:64 ; 16-byte Folded Reload
	scratch_load_dwordx4 v[4:7], off, off offset:80 ; 16-byte Folded Reload
	scratch_load_dwordx4 v[8:11], off, off offset:96 ; 16-byte Folded Reload
	scratch_load_dwordx4 v[12:15], off, off offset:112 ; 16-byte Folded Reload
	s_waitcnt vmcnt(2)
	ds_bpermute_b32 v5, v126, v88 offset:144
	ds_bpermute_b32 v6, v126, v72 offset:144
	ds_bpermute_b32 v7, v126, v36 offset:144
	s_waitcnt vmcnt(1)
	ds_bpermute_b32 v8, v126, v32 offset:144
	ds_bpermute_b32 v9, v126, v34 offset:144
	ds_bpermute_b32 v11, v126, v108 offset:144
	;; [unrolled: 4-line block ×3, first 2 shown]
	ds_bpermute_b32 v15, v126, v92 offset:144
	ds_bpermute_b32 v4, v126, v0 offset:144
	v_mov_b32_e32 v22, v0
	s_mov_b64 s[20:21], exec
	scratch_load_dwordx2 v[18:19], off, off offset:720 ; 8-byte Folded Reload
	s_and_b64 s[24:25], s[20:21], s[0:1]
	s_mov_b64 exec, s[24:25]
	s_cbranch_execz .LBB36_6
; %bb.15:                               ;   in Loop: Header=BB36_7 Depth=1
	s_waitcnt lgkmcnt(1)
	v_add_f32_e32 v15, v92, v15
	v_add_f32_e32 v0, v48, v13
	;; [unrolled: 1-line block ×14, first 2 shown]
	s_waitcnt lgkmcnt(0)
	v_add_f32_e32 v0, v22, v4
	v_add_f32_e32 v0, v0, v124
	v_mul_f32_e32 v0, s7, v0
	v_mul_f32_e32 v1, s7, v1
	v_fma_mixlo_f16 v0, s22, v0, 0
	s_waitcnt vmcnt(0)
	v_mov_b32_e32 v19, v125
	v_mul_f32_e32 v4, s7, v5
	v_fma_mixlo_f16 v1, s22, v1, 0
	v_mul_f32_e32 v5, s7, v7
	v_lshl_add_u64 v[2:3], v[18:19], 1, s[14:15]
	v_fma_mixhi_f16 v1, s22, v5, 0
	v_fma_mixhi_f16 v0, s22, v4, 0
	global_store_dwordx2 v[2:3], v[0:1], off
	v_add_u32_e32 v124, s6, v18
	v_mul_f32_e32 v0, s7, v8
	v_fma_mixlo_f16 v2, s22, v0, 0
	v_lshl_add_u64 v[0:1], v[124:125], 1, s[14:15]
	global_store_short v[0:1], v2, off
	v_mul_f32_e32 v0, s7, v9
	v_add_f32_e32 v11, v108, v11
	v_fma_mixlo_f16 v2, s22, v0, 0
	v_add_u32_e32 v0, 1, v124
	v_mov_b32_e32 v1, v125
	v_add_f32_e32 v11, v11, v70
	v_lshl_add_u64 v[0:1], v[0:1], 1, s[14:15]
	global_store_short v[0:1], v2, off
	v_mul_f32_e32 v0, s7, v11
	v_add_f32_e32 v12, v90, v12
	v_fma_mixlo_f16 v2, s22, v0, 0
	v_add_u32_e32 v0, 2, v124
	v_mov_b32_e32 v1, v125
	v_add_f32_e32 v12, v12, v71
	v_lshl_add_u64 v[0:1], v[0:1], 1, s[14:15]
	global_store_short v[0:1], v2, off
	v_mul_f32_e32 v0, s7, v12
	v_fma_mixlo_f16 v2, s22, v0, 0
	v_add_u32_e32 v0, 3, v124
	v_mov_b32_e32 v1, v125
	v_add_f32_e32 v14, v50, v14
	v_lshl_add_u64 v[0:1], v[0:1], 1, s[14:15]
	v_add_f32_e32 v14, v14, v35
	global_store_short v[0:1], v2, off
	v_mul_f32_e32 v0, s7, v15
	v_add_u32_e32 v124, s6, v124
	v_fma_mixlo_f16 v2, s22, v0, 0
	v_mul_f32_e32 v3, s7, v14
	v_lshl_add_u64 v[0:1], v[124:125], 1, s[14:15]
	v_fma_mixhi_f16 v2, s22, v3, 0
	global_store_dword v[0:1], v2, off
	v_mul_f32_e32 v0, s7, v13
	v_add_f32_e32 v16, v16, v17
	v_fma_mixlo_f16 v2, s22, v0, 0
	v_add_u32_e32 v0, 2, v124
	v_mov_b32_e32 v1, v125
	v_add_f32_e32 v10, v16, v21
	v_lshl_add_u64 v[0:1], v[0:1], 1, s[14:15]
	global_store_short v[0:1], v2, off
	v_mul_f32_e32 v0, s7, v10
	v_add_u32_e32 v124, 3, v124
	v_fma_mixlo_f16 v2, s22, v0, 0
	v_lshl_add_u64 v[0:1], v[124:125], 1, s[14:15]
	global_store_short v[0:1], v2, off
	s_branch .LBB36_6
.LBB36_16:
	s_endpgm
	.section	.rodata,"a",@progbits
	.p2align	6, 0x0
	.amdhsa_kernel _Z17wvSplitKQ_hf_sml_I6__halfN3c1013Float8_e4m3fnELi64ELi4ELi16ELi16ELi1ELi3EEviiiPKT0_S5_PT_PKfS9_ii
		.amdhsa_group_segment_fixed_size 65536
		.amdhsa_private_segment_fixed_size 732
		.amdhsa_kernarg_size 64
		.amdhsa_user_sgpr_count 2
		.amdhsa_user_sgpr_dispatch_ptr 0
		.amdhsa_user_sgpr_queue_ptr 0
		.amdhsa_user_sgpr_kernarg_segment_ptr 1
		.amdhsa_user_sgpr_dispatch_id 0
		.amdhsa_user_sgpr_kernarg_preload_length 0
		.amdhsa_user_sgpr_kernarg_preload_offset 0
		.amdhsa_user_sgpr_private_segment_size 0
		.amdhsa_uses_dynamic_stack 0
		.amdhsa_enable_private_segment 1
		.amdhsa_system_sgpr_workgroup_id_x 1
		.amdhsa_system_sgpr_workgroup_id_y 0
		.amdhsa_system_sgpr_workgroup_id_z 0
		.amdhsa_system_sgpr_workgroup_info 0
		.amdhsa_system_vgpr_workitem_id 1
		.amdhsa_next_free_vgpr 127
		.amdhsa_next_free_sgpr 26
		.amdhsa_accum_offset 128
		.amdhsa_reserve_vcc 1
		.amdhsa_float_round_mode_32 0
		.amdhsa_float_round_mode_16_64 0
		.amdhsa_float_denorm_mode_32 3
		.amdhsa_float_denorm_mode_16_64 3
		.amdhsa_dx10_clamp 1
		.amdhsa_ieee_mode 1
		.amdhsa_fp16_overflow 0
		.amdhsa_tg_split 0
		.amdhsa_exception_fp_ieee_invalid_op 0
		.amdhsa_exception_fp_denorm_src 0
		.amdhsa_exception_fp_ieee_div_zero 0
		.amdhsa_exception_fp_ieee_overflow 0
		.amdhsa_exception_fp_ieee_underflow 0
		.amdhsa_exception_fp_ieee_inexact 0
		.amdhsa_exception_int_div_zero 0
	.end_amdhsa_kernel
	.section	.text._Z17wvSplitKQ_hf_sml_I6__halfN3c1013Float8_e4m3fnELi64ELi4ELi16ELi16ELi1ELi3EEviiiPKT0_S5_PT_PKfS9_ii,"axG",@progbits,_Z17wvSplitKQ_hf_sml_I6__halfN3c1013Float8_e4m3fnELi64ELi4ELi16ELi16ELi1ELi3EEviiiPKT0_S5_PT_PKfS9_ii,comdat
.Lfunc_end36:
	.size	_Z17wvSplitKQ_hf_sml_I6__halfN3c1013Float8_e4m3fnELi64ELi4ELi16ELi16ELi1ELi3EEviiiPKT0_S5_PT_PKfS9_ii, .Lfunc_end36-_Z17wvSplitKQ_hf_sml_I6__halfN3c1013Float8_e4m3fnELi64ELi4ELi16ELi16ELi1ELi3EEviiiPKT0_S5_PT_PKfS9_ii
                                        ; -- End function
	.section	.AMDGPU.csdata,"",@progbits
; Kernel info:
; codeLenInByte = 5772
; NumSgprs: 32
; NumVgprs: 127
; NumAgprs: 0
; TotalNumVgprs: 127
; ScratchSize: 732
; MemoryBound: 1
; FloatMode: 240
; IeeeMode: 1
; LDSByteSize: 65536 bytes/workgroup (compile time only)
; SGPRBlocks: 3
; VGPRBlocks: 15
; NumSGPRsForWavesPerEU: 32
; NumVGPRsForWavesPerEU: 127
; AccumOffset: 128
; Occupancy: 4
; WaveLimiterHint : 0
; COMPUTE_PGM_RSRC2:SCRATCH_EN: 1
; COMPUTE_PGM_RSRC2:USER_SGPR: 2
; COMPUTE_PGM_RSRC2:TRAP_HANDLER: 0
; COMPUTE_PGM_RSRC2:TGID_X_EN: 1
; COMPUTE_PGM_RSRC2:TGID_Y_EN: 0
; COMPUTE_PGM_RSRC2:TGID_Z_EN: 0
; COMPUTE_PGM_RSRC2:TIDIG_COMP_CNT: 1
; COMPUTE_PGM_RSRC3_GFX90A:ACCUM_OFFSET: 31
; COMPUTE_PGM_RSRC3_GFX90A:TG_SPLIT: 0
	.section	.text._Z13wvSplitKQ_hf_I6__halfN3c1013Float8_e4m3fnELi64ELi7ELi16ELi16ELi1ELi3EEviiiPKT0_S5_PT_PKfS9_ii,"axG",@progbits,_Z13wvSplitKQ_hf_I6__halfN3c1013Float8_e4m3fnELi64ELi7ELi16ELi16ELi1ELi3EEviiiPKT0_S5_PT_PKfS9_ii,comdat
	.protected	_Z13wvSplitKQ_hf_I6__halfN3c1013Float8_e4m3fnELi64ELi7ELi16ELi16ELi1ELi3EEviiiPKT0_S5_PT_PKfS9_ii ; -- Begin function _Z13wvSplitKQ_hf_I6__halfN3c1013Float8_e4m3fnELi64ELi7ELi16ELi16ELi1ELi3EEviiiPKT0_S5_PT_PKfS9_ii
	.globl	_Z13wvSplitKQ_hf_I6__halfN3c1013Float8_e4m3fnELi64ELi7ELi16ELi16ELi1ELi3EEviiiPKT0_S5_PT_PKfS9_ii
	.p2align	8
	.type	_Z13wvSplitKQ_hf_I6__halfN3c1013Float8_e4m3fnELi64ELi7ELi16ELi16ELi1ELi3EEviiiPKT0_S5_PT_PKfS9_ii,@function
_Z13wvSplitKQ_hf_I6__halfN3c1013Float8_e4m3fnELi64ELi7ELi16ELi16ELi1ELi3EEviiiPKT0_S5_PT_PKfS9_ii: ; @_Z13wvSplitKQ_hf_I6__halfN3c1013Float8_e4m3fnELi64ELi7ELi16ELi16ELi1ELi3EEviiiPKT0_S5_PT_PKfS9_ii
; %bb.0:
	s_load_dwordx4 s[20:23], s[0:1], 0x0
	s_load_dwordx2 s[24:25], s[0:1], 0x18
	s_load_dwordx4 s[4:7], s[0:1], 0x28
	v_bfe_u32 v1, v0, 10, 10
	v_and_b32_e32 v0, 0x3ff, v0
	v_lshlrev_b32_e32 v4, 4, v0
	v_mov_b32_e32 v2, v4
	s_waitcnt lgkmcnt(0)
	s_mul_i32 s3, s20, 3
	scratch_store_dwordx2 off, v[2:3], off offset:2592 ; 8-byte Folded Spill
	v_lshl_add_u32 v2, v1, 10, v4
	s_min_i32 s3, s3, 0x10000
	v_cmp_gt_u32_e32 vcc, s3, v2
	s_and_saveexec_b64 s[8:9], vcc
	s_cbranch_execz .LBB37_3
; %bb.1:
	s_mov_b64 s[10:11], 0
.LBB37_2:                               ; =>This Inner Loop Header: Depth=1
	global_load_dwordx4 v[4:7], v2, s[24:25]
	s_waitcnt vmcnt(0)
	ds_write_b128 v2, v[4:7]
	v_add_u32_e32 v2, 0x4000, v2
	v_cmp_le_u32_e32 vcc, s3, v2
	s_or_b64 s[10:11], vcc, s[10:11]
	s_andn2_b64 exec, exec, s[10:11]
	s_cbranch_execnz .LBB37_2
.LBB37_3:
	s_or_b64 exec, exec, s[8:9]
	s_load_dwordx2 s[8:9], s[0:1], 0x38
	s_waitcnt lgkmcnt(0)
	s_barrier
	v_cmp_gt_u32_e32 vcc, s8, v1
	s_and_saveexec_b64 s[10:11], vcc
	s_cbranch_execz .LBB37_56
; %bb.4:
	s_mul_i32 s2, s2, s8
	v_add_u32_e32 v1, s2, v1
	v_mul_lo_u32 v20, v1, 7
	v_cmp_gt_u32_e32 vcc, s22, v20
	s_and_b64 exec, exec, vcc
	s_cbranch_execz .LBB37_56
; %bb.5:
	s_load_dword s23, s[4:5], 0x0
	s_load_dword s33, s[6:7], 0x0
	s_load_dwordx2 s[26:27], s[0:1], 0x10
	s_load_dwordx2 s[28:29], s[0:1], 0x20
	scratch_load_dwordx2 v[2:3], off, off offset:2592 ; 8-byte Folded Reload
	s_mov_b32 s4, 0
	v_cmp_eq_u32_e64 s[0:1], 0, v0
	v_mul_lo_u32 v0, s21, v1
	s_mov_b32 s5, s4
	s_mov_b32 s6, s4
	;; [unrolled: 1-line block ×3, first 2 shown]
	s_mul_i32 s38, s8, s9
	s_cmp_lg_u32 s20, 0
	s_mul_i32 s38, s38, 7
	s_cselect_b64 s[30:31], -1, 0
	s_lshl_b32 s39, s22, 1
	s_mul_i32 s40, s38, s21
	s_ashr_i32 s35, s21, 31
	s_mov_b32 s34, s21
	s_mov_b64 s[36:37], 0
	v_mov_b32_e32 v23, 0
	s_mov_b32 s21, 0xffff
	s_waitcnt vmcnt(0)
	v_mad_u64_u32 v[0:1], s[2:3], v0, 7, v[2:3]
	scratch_store_dwordx2 off, v[0:1], off offset:2856 ; 8-byte Folded Spill
	v_mov_b64_e32 v[0:1], s[4:5]
	v_mov_b64_e32 v[2:3], s[6:7]
	scratch_store_dwordx4 off, v[0:3], off offset:2864 ; 16-byte Folded Spill
	s_nop 1
	v_mbcnt_lo_u32_b32 v0, -1, 0
	v_mbcnt_hi_u32_b32 v0, -1, v0
	v_lshlrev_b32_e32 v0, 2, v0
	v_and_b32_e32 v21, 0x100, v0
	scratch_store_dword off, v21, off offset:2880 ; 4-byte Folded Spill
	s_branch .LBB37_7
.LBB37_6:                               ;   in Loop: Header=BB37_7 Depth=1
	s_or_b64 exec, exec, s[6:7]
	scratch_load_dwordx2 v[0:1], off, off offset:2856 ; 8-byte Folded Reload
	v_add_u32_e32 v20, s38, v20
	v_cmp_le_u32_e32 vcc, s22, v20
	s_or_b64 s[36:37], vcc, s[36:37]
	s_waitcnt vmcnt(0)
	v_add_u32_e32 v0, s40, v0
	scratch_store_dwordx2 off, v[0:1], off offset:2856 ; 8-byte Folded Spill
	s_andn2_b64 exec, exec, s[36:37]
	s_cbranch_execz .LBB37_56
.LBB37_7:                               ; =>This Loop Header: Depth=1
                                        ;     Child Loop BB37_9 Depth 2
                                        ;       Child Loop BB37_11 Depth 3
                                        ;     Child Loop BB37_29 Depth 2
                                        ;     Child Loop BB37_31 Depth 2
                                        ;     Child Loop BB37_33 Depth 2
	scratch_load_dwordx4 v[0:3], off, off offset:2864 ; 16-byte Folded Reload
	s_and_b64 vcc, exec, s[30:31]
	s_waitcnt vmcnt(0)
	scratch_store_dwordx4 off, v[0:3], off offset:48
	scratch_store_dwordx4 off, v[0:3], off offset:32
	scratch_store_dwordx4 off, v[0:3], off offset:16
	scratch_store_dwordx4 off, v[0:3], off
	scratch_store_dwordx4 off, v[0:3], off offset:496
	scratch_store_dwordx4 off, v[0:3], off offset:480
	;; [unrolled: 1-line block ×80, first 2 shown]
	s_cbranch_vccz .LBB37_28
; %bb.8:                                ;   in Loop: Header=BB37_7 Depth=1
	scratch_load_dwordx2 v[0:1], off, off offset:2856 ; 8-byte Folded Reload
	s_mov_b32 s18, s4
	s_mov_b32 s19, s4
	;; [unrolled: 1-line block ×15, first 2 shown]
	v_mov_b64_e32 v[78:79], s[18:19]
	v_mov_b64_e32 v[76:77], s[16:17]
	;; [unrolled: 1-line block ×8, first 2 shown]
	scratch_store_dwordx2 off, v[20:21], off offset:1656 ; 8-byte Folded Spill
	s_mov_b32 s41, 0
	s_waitcnt vmcnt(1)
	v_mov_b32_e32 v22, v0
	scratch_store_dwordx2 off, v[22:23], off offset:1520 ; 8-byte Folded Spill
	scratch_store_dwordx4 off, v[64:67], off offset:2208 ; 16-byte Folded Spill
	s_nop 0
	scratch_store_dwordx4 off, v[68:71], off offset:2224 ; 16-byte Folded Spill
	scratch_store_dwordx4 off, v[72:75], off offset:2240 ; 16-byte Folded Spill
	scratch_store_dwordx4 off, v[76:79], off offset:2256 ; 16-byte Folded Spill
	scratch_store_dwordx4 off, v[64:67], off offset:2272 ; 16-byte Folded Spill
	s_nop 0
	scratch_store_dwordx4 off, v[68:71], off offset:2288 ; 16-byte Folded Spill
	scratch_store_dwordx4 off, v[72:75], off offset:2304 ; 16-byte Folded Spill
	scratch_store_dwordx4 off, v[76:79], off offset:2320 ; 16-byte Folded Spill
	;; [unrolled: 5-line block ×4, first 2 shown]
	v_mov_b64_e32 v[102:103], v[78:79]
	v_mov_b64_e32 v[40:41], v[64:65]
	;; [unrolled: 1-line block ×40, first 2 shown]
	scratch_store_dwordx4 off, v[64:67], off offset:1528 ; 16-byte Folded Spill
	s_nop 0
	scratch_store_dwordx4 off, v[68:71], off offset:1544 ; 16-byte Folded Spill
	scratch_store_dwordx4 off, v[72:75], off offset:1560 ; 16-byte Folded Spill
	scratch_store_dwordx4 off, v[76:79], off offset:1576 ; 16-byte Folded Spill
	scratch_store_dwordx4 off, v[64:67], off offset:2080 ; 16-byte Folded Spill
	s_nop 0
	scratch_store_dwordx4 off, v[68:71], off offset:2096 ; 16-byte Folded Spill
	scratch_store_dwordx4 off, v[72:75], off offset:2112 ; 16-byte Folded Spill
	scratch_store_dwordx4 off, v[76:79], off offset:2128 ; 16-byte Folded Spill
	;; [unrolled: 5-line block ×12, first 2 shown]
.LBB37_9:                               ;   Parent Loop BB37_7 Depth=1
                                        ; =>  This Loop Header: Depth=2
                                        ;       Child Loop BB37_11 Depth 3
	scratch_load_dwordx2 v[0:1], off, off offset:2592 ; 8-byte Folded Reload
	s_waitcnt vmcnt(0)
	v_add_u32_e32 v82, s41, v0
	v_cmp_gt_u32_e32 vcc, s20, v82
	s_and_saveexec_b64 s[2:3], vcc
	s_cbranch_execz .LBB37_25
; %bb.10:                               ;   in Loop: Header=BB37_9 Depth=2
	scratch_store_dwordx4 off, v[104:107], off offset:2792 ; 16-byte Folded Spill
	s_nop 0
	scratch_store_dwordx4 off, v[108:111], off offset:2808 ; 16-byte Folded Spill
	scratch_store_dwordx4 off, v[112:115], off offset:2824 ; 16-byte Folded Spill
	;; [unrolled: 1-line block ×3, first 2 shown]
	scratch_load_dwordx2 v[0:1], off, off offset:1520 ; 8-byte Folded Reload
	v_mov_b32_e32 v83, 0x540
	s_mov_b32 s5, 0
	s_mov_b64 s[6:7], 0
	s_waitcnt vmcnt(0) lgkmcnt(0)
	v_lshl_add_u64 v[80:81], s[26:27], 0, v[0:1]
	scratch_load_dwordx2 v[0:1], off, off offset:1656 ; 8-byte Folded Reload
.LBB37_11:                              ;   Parent Loop BB37_7 Depth=1
                                        ;     Parent Loop BB37_9 Depth=2
                                        ; =>    This Inner Loop Header: Depth=3
	global_load_dwordx4 v[84:87], v[80:81], off nt
	s_add_i32 s10, s5, 1
	s_cmp_gt_u32 s5, 5
	s_cselect_b64 s[8:9], -1, 0
	v_lshl_add_u64 v[80:81], v[80:81], 0, s[34:35]
	s_mov_b32 s5, s10
	s_waitcnt vmcnt(0)
	scratch_store_dwordx4 v83, v[84:87], off
	s_nop 1
	v_add_u32_e32 v84, s10, v0
	v_cmp_le_u32_e32 vcc, s22, v84
	s_or_b64 s[8:9], s[8:9], vcc
	s_and_b64 s[8:9], exec, s[8:9]
	v_add_u32_e32 v83, 16, v83
	s_or_b64 s[6:7], s[8:9], s[6:7]
	s_andn2_b64 exec, exec, s[6:7]
	s_cbranch_execnz .LBB37_11
; %bb.12:                               ;   in Loop: Header=BB37_9 Depth=2
	s_or_b64 exec, exec, s[6:7]
	v_cmp_lt_u32_e32 vcc, s21, v82
                                        ; implicit-def: $vgpr56_vgpr57
	s_and_saveexec_b64 s[6:7], vcc
	s_xor_b64 s[6:7], exec, s[6:7]
	s_cbranch_execz .LBB37_14
; %bb.13:                               ;   in Loop: Header=BB37_9 Depth=2
	global_load_dwordx4 v[56:59], v82, s[24:25]
.LBB37_14:                              ;   in Loop: Header=BB37_9 Depth=2
	s_andn2_saveexec_b64 s[6:7], s[6:7]
	s_cbranch_execz .LBB37_16
; %bb.15:                               ;   in Loop: Header=BB37_9 Depth=2
	s_waitcnt vmcnt(0)
	ds_read_b128 v[56:59], v82
.LBB37_16:                              ;   in Loop: Header=BB37_9 Depth=2
	s_or_b64 exec, exec, s[6:7]
	v_add_u32_e32 v80, s20, v82
	v_cmp_lt_u32_e32 vcc, s21, v80
                                        ; implicit-def: $vgpr0_vgpr1
	scratch_store_dwordx4 off, v[0:3], off offset:2064 ; 16-byte Folded Spill
	s_and_saveexec_b64 s[6:7], vcc
	s_xor_b64 s[6:7], exec, s[6:7]
	s_cbranch_execz .LBB37_18
; %bb.17:                               ;   in Loop: Header=BB37_9 Depth=2
	global_load_dwordx4 v[18:21], v80, s[24:25]
	s_waitcnt vmcnt(0)
	scratch_store_dwordx4 off, v[18:21], off offset:2064 ; 16-byte Folded Spill
.LBB37_18:                              ;   in Loop: Header=BB37_9 Depth=2
	s_andn2_saveexec_b64 s[6:7], s[6:7]
	s_cbranch_execz .LBB37_20
; %bb.19:                               ;   in Loop: Header=BB37_9 Depth=2
	ds_read_b128 v[18:21], v80
	s_waitcnt lgkmcnt(0)
	scratch_store_dwordx4 off, v[18:21], off offset:2064 ; 16-byte Folded Spill
.LBB37_20:                              ;   in Loop: Header=BB37_9 Depth=2
	s_or_b64 exec, exec, s[6:7]
	v_add_u32_e32 v84, s20, v80
	v_cmp_lt_u32_e32 vcc, s21, v84
                                        ; implicit-def: $vgpr0_vgpr1
	scratch_store_dwordx4 off, v[0:3], off offset:2048 ; 16-byte Folded Spill
	s_and_saveexec_b64 s[6:7], vcc
	s_xor_b64 s[6:7], exec, s[6:7]
	s_cbranch_execz .LBB37_22
; %bb.21:                               ;   in Loop: Header=BB37_9 Depth=2
	global_load_dwordx4 v[18:21], v84, s[24:25]
                                        ; implicit-def: $vgpr84
	s_waitcnt vmcnt(0)
	scratch_store_dwordx4 off, v[18:21], off offset:2048 ; 16-byte Folded Spill
.LBB37_22:                              ;   in Loop: Header=BB37_9 Depth=2
	s_or_saveexec_b64 s[6:7], s[6:7]
	scratch_store_dwordx4 off, v[2:5], off offset:1592 ; 16-byte Folded Spill
	s_nop 0
	scratch_store_dwordx4 off, v[6:9], off offset:1608 ; 16-byte Folded Spill
	scratch_store_dwordx4 off, v[10:13], off offset:1624 ; 16-byte Folded Spill
	scratch_store_dwordx4 off, v[14:17], off offset:1640 ; 16-byte Folded Spill
	scratch_store_dwordx4 off, v[24:27], off offset:2728 ; 16-byte Folded Spill
	s_nop 0
	scratch_store_dwordx4 off, v[28:31], off offset:2744 ; 16-byte Folded Spill
	scratch_store_dwordx4 off, v[32:35], off offset:2760 ; 16-byte Folded Spill
	scratch_store_dwordx4 off, v[36:39], off offset:2776 ; 16-byte Folded Spill
	;; [unrolled: 5-line block ×4, first 2 shown]
	s_xor_b64 exec, exec, s[6:7]
	s_cbranch_execz .LBB37_24
; %bb.23:                               ;   in Loop: Header=BB37_9 Depth=2
	ds_read_b128 v[0:3], v84
	s_waitcnt lgkmcnt(0)
	scratch_store_dwordx4 off, v[0:3], off offset:2048 ; 16-byte Folded Spill
.LBB37_24:                              ;   in Loop: Header=BB37_9 Depth=2
	s_or_b64 exec, exec, s[6:7]
	scratch_load_dwordx4 v[116:119], off, off offset:1344
	scratch_load_dwordx4 v[96:99], off, off offset:1360
	scratch_load_dwordx4 v[80:83], off, off offset:2080 ; 16-byte Folded Reload
	scratch_load_dwordx4 v[84:87], off, off offset:2096 ; 16-byte Folded Reload
	;; [unrolled: 1-line block ×8, first 2 shown]
	s_waitcnt vmcnt(4) lgkmcnt(0)
	v_mfma_f32_32x32x16_fp8_fp8 v[80:95], v[56:57], v[116:117], v[80:95]
	s_waitcnt vmcnt(0)
	v_mfma_f32_32x32x16_fp8_fp8 v[0:15], v[56:57], v[96:97], v[0:15]
	s_nop 7
	s_nop 2
	scratch_store_dwordx4 off, v[0:3], off offset:1528 ; 16-byte Folded Spill
	s_nop 0
	scratch_store_dwordx4 off, v[4:7], off offset:1544 ; 16-byte Folded Spill
	scratch_store_dwordx4 off, v[8:11], off offset:1560 ; 16-byte Folded Spill
	scratch_store_dwordx4 off, v[12:15], off offset:1576 ; 16-byte Folded Spill
	v_mfma_f32_32x32x16_fp8_fp8 v[80:95], v[58:59], v[118:119], v[80:95]
	scratch_load_dwordx4 v[60:63], off, off offset:1376
	scratch_load_dwordx4 v[48:51], off, off offset:1392
	scratch_load_dwordx4 v[100:103], off, off offset:2400 ; 16-byte Folded Reload
	scratch_load_dwordx4 v[104:107], off, off offset:2416 ; 16-byte Folded Reload
	scratch_load_dwordx4 v[108:111], off, off offset:2432 ; 16-byte Folded Reload
	scratch_load_dwordx4 v[112:115], off, off offset:2448 ; 16-byte Folded Reload
	scratch_load_dwordx4 v[32:35], off, off offset:2336 ; 16-byte Folded Reload
	scratch_load_dwordx4 v[36:39], off, off offset:2352 ; 16-byte Folded Reload
	scratch_load_dwordx4 v[40:43], off, off offset:2368 ; 16-byte Folded Reload
	scratch_load_dwordx4 v[44:47], off, off offset:2384 ; 16-byte Folded Reload
	scratch_load_dwordx4 v[120:123], off, off offset:1408
	scratch_load_dwordx4 v[52:55], off, off offset:1424
	scratch_load_dwordx4 v[64:67], off, off offset:2272 ; 16-byte Folded Reload
	scratch_load_dwordx4 v[68:71], off, off offset:2288 ; 16-byte Folded Reload
	;; [unrolled: 1-line block ×8, first 2 shown]
	scratch_load_dwordx4 v[124:127], off, off offset:1440
	scratch_load_dwordx4 v[0:3], off, off offset:2144 ; 16-byte Folded Reload
	scratch_load_dwordx4 v[4:7], off, off offset:2160 ; 16-byte Folded Reload
	;; [unrolled: 1-line block ×4, first 2 shown]
	s_nop 0
	scratch_store_dwordx4 off, v[80:83], off offset:2080 ; 16-byte Folded Spill
	s_nop 0
	scratch_store_dwordx4 off, v[84:87], off offset:2096 ; 16-byte Folded Spill
	scratch_store_dwordx4 off, v[88:91], off offset:2112 ; 16-byte Folded Spill
	;; [unrolled: 1-line block ×3, first 2 shown]
	scratch_load_dwordx4 v[80:83], off, off offset:1528 ; 16-byte Folded Reload
	s_nop 0
	scratch_load_dwordx4 v[84:87], off, off offset:1544 ; 16-byte Folded Reload
	scratch_load_dwordx4 v[88:91], off, off offset:1560 ; 16-byte Folded Reload
	scratch_load_dwordx4 v[92:95], off, off offset:1576 ; 16-byte Folded Reload
	s_waitcnt vmcnt(27)
	v_mfma_f32_32x32x16_fp8_fp8 v[100:115], v[56:57], v[60:61], v[100:115]
	s_waitcnt vmcnt(0)
	v_mfma_f32_32x32x16_fp8_fp8 v[80:95], v[58:59], v[98:99], v[80:95]
	s_nop 7
	s_nop 2
	scratch_store_dwordx4 off, v[80:83], off offset:1528 ; 16-byte Folded Spill
	s_nop 0
	scratch_store_dwordx4 off, v[84:87], off offset:1544 ; 16-byte Folded Spill
	scratch_store_dwordx4 off, v[88:91], off offset:1560 ; 16-byte Folded Spill
	;; [unrolled: 1-line block ×3, first 2 shown]
	s_nop 0
	v_mov_b64_e32 v[90:91], v[62:63]
	v_mfma_f32_32x32x16_fp8_fp8 v[32:47], v[56:57], v[48:49], v[32:47]
	v_mov_b64_e32 v[88:89], v[60:61]
	v_mov_b64_e32 v[86:87], v[50:51]
	;; [unrolled: 1-line block ×3, first 2 shown]
	v_mfma_f32_32x32x16_fp8_fp8 v[100:115], v[58:59], v[90:91], v[100:115]
	s_nop 7
	s_nop 2
	scratch_store_dwordx4 off, v[100:103], off offset:2400 ; 16-byte Folded Spill
	s_nop 0
	scratch_store_dwordx4 off, v[104:107], off offset:2416 ; 16-byte Folded Spill
	scratch_store_dwordx4 off, v[108:111], off offset:2432 ; 16-byte Folded Spill
	;; [unrolled: 1-line block ×3, first 2 shown]
	v_mfma_f32_32x32x16_fp8_fp8 v[64:79], v[56:57], v[120:121], v[64:79]
	s_nop 0
	v_mov_b64_e32 v[114:115], v[54:55]
	v_mov_b64_e32 v[112:113], v[52:53]
	v_mfma_f32_32x32x16_fp8_fp8 v[16:31], v[56:57], v[52:53], v[16:31]
	v_mfma_f32_32x32x16_fp8_fp8 v[0:15], v[56:57], v[124:125], v[0:15]
	v_mfma_f32_32x32x16_fp8_fp8 v[32:47], v[58:59], v[50:51], v[32:47]
	s_nop 7
	s_nop 2
	scratch_store_dwordx4 off, v[32:35], off offset:2336 ; 16-byte Folded Spill
	s_nop 0
	scratch_store_dwordx4 off, v[36:39], off offset:2352 ; 16-byte Folded Spill
	scratch_store_dwordx4 off, v[40:43], off offset:2368 ; 16-byte Folded Spill
	scratch_store_dwordx4 off, v[44:47], off offset:2384 ; 16-byte Folded Spill
	v_mfma_f32_32x32x16_fp8_fp8 v[64:79], v[58:59], v[122:123], v[64:79]
	s_nop 7
	s_nop 2
	scratch_store_dwordx4 off, v[64:67], off offset:2272 ; 16-byte Folded Spill
	s_nop 0
	scratch_store_dwordx4 off, v[68:71], off offset:2288 ; 16-byte Folded Spill
	scratch_store_dwordx4 off, v[72:75], off offset:2304 ; 16-byte Folded Spill
	scratch_store_dwordx4 off, v[76:79], off offset:2320 ; 16-byte Folded Spill
	v_mfma_f32_32x32x16_fp8_fp8 v[16:31], v[58:59], v[114:115], v[16:31]
	;; [unrolled: 8-line block ×3, first 2 shown]
	s_nop 7
	s_nop 2
	scratch_store_dwordx4 off, v[0:3], off offset:2144 ; 16-byte Folded Spill
	s_nop 0
	scratch_store_dwordx4 off, v[4:7], off offset:2160 ; 16-byte Folded Spill
	scratch_store_dwordx4 off, v[8:11], off offset:2176 ; 16-byte Folded Spill
	;; [unrolled: 1-line block ×3, first 2 shown]
	scratch_load_dwordx4 v[16:19], off, off offset:1856 ; 16-byte Folded Reload
	scratch_load_dwordx4 v[20:23], off, off offset:1872 ; 16-byte Folded Reload
	;; [unrolled: 1-line block ×9, first 2 shown]
	v_mov_b64_e32 v[32:33], v[96:97]
	v_mov_b64_e32 v[34:35], v[98:99]
	s_waitcnt vmcnt(0)
	v_mfma_f32_32x32x16_fp8_fp8 v[0:15], v[108:109], v[96:97], v[0:15]
	s_nop 7
	s_nop 2
	v_mov_b64_e32 v[106:107], v[14:15]
	v_mov_b64_e32 v[104:105], v[12:13]
	;; [unrolled: 1-line block ×8, first 2 shown]
	scratch_load_dwordx4 v[0:3], off, off offset:1728 ; 16-byte Folded Reload
	scratch_load_dwordx4 v[4:7], off, off offset:1744 ; 16-byte Folded Reload
	;; [unrolled: 1-line block ×4, first 2 shown]
	v_mfma_f32_32x32x16_fp8_fp8 v[16:31], v[108:109], v[116:117], v[16:31]
	s_waitcnt vmcnt(0)
	v_mfma_f32_32x32x16_fp8_fp8 v[0:15], v[108:109], v[88:89], v[0:15]
	s_nop 7
	s_nop 2
	v_mov_b64_e32 v[66:67], v[14:15]
	v_mov_b64_e32 v[64:65], v[12:13]
	;; [unrolled: 1-line block ×8, first 2 shown]
	scratch_load_dwordx4 v[0:3], off, off offset:1664 ; 16-byte Folded Reload
	scratch_load_dwordx4 v[4:7], off, off offset:1680 ; 16-byte Folded Reload
	;; [unrolled: 1-line block ×4, first 2 shown]
	s_waitcnt vmcnt(0)
	v_mfma_f32_32x32x16_fp8_fp8 v[0:15], v[108:109], v[48:49], v[0:15]
	scratch_load_dwordx4 v[68:71], off, off offset:1984 ; 16-byte Folded Reload
	scratch_load_dwordx4 v[72:75], off, off offset:2000 ; 16-byte Folded Reload
	;; [unrolled: 1-line block ×4, first 2 shown]
	s_nop 6
	v_mov_b64_e32 v[50:51], v[14:15]
	v_mov_b64_e32 v[48:49], v[12:13]
	;; [unrolled: 1-line block ×8, first 2 shown]
	scratch_load_dwordx4 v[0:3], off, off offset:1456 ; 16-byte Folded Reload
	scratch_load_dwordx4 v[4:7], off, off offset:1472 ; 16-byte Folded Reload
	;; [unrolled: 1-line block ×4, first 2 shown]
	s_waitcnt vmcnt(4)
	v_mfma_f32_32x32x16_fp8_fp8 v[68:83], v[108:109], v[120:121], v[68:83]
	s_waitcnt vmcnt(0)
	v_mfma_f32_32x32x16_fp8_fp8 v[0:15], v[108:109], v[112:113], v[0:15]
	s_nop 7
	s_nop 2
	scratch_store_dwordx4 off, v[0:3], off offset:1456 ; 16-byte Folded Spill
	s_nop 0
	scratch_store_dwordx4 off, v[4:7], off offset:1472 ; 16-byte Folded Spill
	scratch_store_dwordx4 off, v[8:11], off offset:1488 ; 16-byte Folded Spill
	;; [unrolled: 1-line block ×3, first 2 shown]
	v_mfma_f32_32x32x16_fp8_fp8 v[16:31], v[110:111], v[118:119], v[16:31]
	scratch_load_dwordx4 v[0:3], off, off offset:1920 ; 16-byte Folded Reload
	scratch_load_dwordx4 v[4:7], off, off offset:1936 ; 16-byte Folded Reload
	;; [unrolled: 1-line block ×4, first 2 shown]
	s_nop 6
	scratch_store_dwordx4 off, v[16:19], off offset:1856 ; 16-byte Folded Spill
	s_nop 0
	scratch_store_dwordx4 off, v[20:23], off offset:1872 ; 16-byte Folded Spill
	scratch_store_dwordx4 off, v[24:27], off offset:1888 ; 16-byte Folded Spill
	scratch_store_dwordx4 off, v[28:31], off offset:1904 ; 16-byte Folded Spill
	v_mfma_f32_32x32x16_fp8_fp8 v[92:107], v[110:111], v[34:35], v[92:107]
	s_nop 7
	s_nop 2
	scratch_store_dwordx4 off, v[92:95], off offset:1792 ; 16-byte Folded Spill
	s_nop 0
	scratch_store_dwordx4 off, v[96:99], off offset:1808 ; 16-byte Folded Spill
	scratch_store_dwordx4 off, v[100:103], off offset:1824 ; 16-byte Folded Spill
	scratch_store_dwordx4 off, v[104:107], off offset:1840 ; 16-byte Folded Spill
	v_mfma_f32_32x32x16_fp8_fp8 v[52:67], v[110:111], v[90:91], v[52:67]
	s_nop 7
	;; [unrolled: 8-line block ×4, first 2 shown]
	s_nop 2
	scratch_store_dwordx4 off, v[68:71], off offset:1984 ; 16-byte Folded Spill
	s_nop 0
	scratch_store_dwordx4 off, v[72:75], off offset:2000 ; 16-byte Folded Spill
	scratch_store_dwordx4 off, v[76:79], off offset:2016 ; 16-byte Folded Spill
	;; [unrolled: 1-line block ×3, first 2 shown]
	scratch_load_dwordx4 v[36:39], off, off offset:1456 ; 16-byte Folded Reload
	scratch_load_dwordx4 v[40:43], off, off offset:1472 ; 16-byte Folded Reload
	;; [unrolled: 1-line block ×4, first 2 shown]
	s_waitcnt vmcnt(24)
	v_mfma_f32_32x32x16_fp8_fp8 v[0:15], v[108:109], v[124:125], v[0:15]
	v_mov_b64_e32 v[24:25], v[84:85]
	v_mov_b64_e32 v[16:17], v[112:113]
	;; [unrolled: 1-line block ×4, first 2 shown]
	s_waitcnt vmcnt(0)
	v_mfma_f32_32x32x16_fp8_fp8 v[36:51], v[110:111], v[114:115], v[36:51]
	s_nop 7
	s_nop 2
	scratch_store_dwordx4 off, v[36:39], off offset:1456 ; 16-byte Folded Spill
	s_nop 0
	scratch_store_dwordx4 off, v[40:43], off offset:1472 ; 16-byte Folded Spill
	scratch_store_dwordx4 off, v[44:47], off offset:1488 ; 16-byte Folded Spill
	;; [unrolled: 1-line block ×3, first 2 shown]
	v_mfma_f32_32x32x16_fp8_fp8 v[0:15], v[110:111], v[126:127], v[0:15]
	s_nop 7
	s_nop 2
	scratch_store_dwordx4 off, v[0:3], off offset:1920 ; 16-byte Folded Spill
	s_nop 0
	scratch_store_dwordx4 off, v[4:7], off offset:1936 ; 16-byte Folded Spill
	scratch_store_dwordx4 off, v[8:11], off offset:1952 ; 16-byte Folded Spill
	;; [unrolled: 1-line block ×3, first 2 shown]
	scratch_load_dwordx4 v[56:59], off, off offset:2528 ; 16-byte Folded Reload
	scratch_load_dwordx4 v[60:63], off, off offset:2544 ; 16-byte Folded Reload
	;; [unrolled: 1-line block ×5, first 2 shown]
	s_waitcnt vmcnt(0)
	v_mfma_f32_32x32x16_fp8_fp8 v[56:71], v[20:21], v[116:117], v[56:71]
	v_mov_b64_e32 v[0:1], v[24:25]
	v_mov_b64_e32 v[2:3], v[26:27]
	v_mfma_f32_32x32x16_fp8_fp8 v[56:71], v[22:23], v[118:119], v[56:71]
	scratch_load_dwordx4 v[104:107], off, off offset:2464 ; 16-byte Folded Reload
	scratch_load_dwordx4 v[108:111], off, off offset:2480 ; 16-byte Folded Reload
	;; [unrolled: 1-line block ×8, first 2 shown]
	s_waitcnt vmcnt(0)
	v_mfma_f32_32x32x16_fp8_fp8 v[72:87], v[20:21], v[88:89], v[72:87]
	v_mfma_f32_32x32x16_fp8_fp8 v[72:87], v[22:23], v[90:91], v[72:87]
	s_nop 7
	s_nop 2
	scratch_store_dwordx4 off, v[72:75], off offset:1592 ; 16-byte Folded Spill
	s_nop 0
	scratch_store_dwordx4 off, v[76:79], off offset:1608 ; 16-byte Folded Spill
	scratch_store_dwordx4 off, v[80:83], off offset:1624 ; 16-byte Folded Spill
	scratch_store_dwordx4 off, v[84:87], off offset:1640 ; 16-byte Folded Spill
	scratch_load_dwordx4 v[72:75], off, off offset:2792 ; 16-byte Folded Reload
	s_nop 0
	scratch_load_dwordx4 v[76:79], off, off offset:2808 ; 16-byte Folded Reload
	scratch_load_dwordx4 v[80:83], off, off offset:2824 ; 16-byte Folded Reload
	;; [unrolled: 1-line block ×3, first 2 shown]
	v_mfma_f32_32x32x16_fp8_fp8 v[104:119], v[20:21], v[32:33], v[104:119]
	v_mfma_f32_32x32x16_fp8_fp8 v[104:119], v[22:23], v[34:35], v[104:119]
	scratch_load_dwordx4 v[24:27], off, off offset:2728 ; 16-byte Folded Reload
	scratch_load_dwordx4 v[28:31], off, off offset:2744 ; 16-byte Folded Reload
	;; [unrolled: 1-line block ×12, first 2 shown]
	s_waitcnt vmcnt(12)
	v_mfma_f32_32x32x16_fp8_fp8 v[72:87], v[20:21], v[0:1], v[72:87]
	v_mfma_f32_32x32x16_fp8_fp8 v[72:87], v[22:23], v[2:3], v[72:87]
	v_mov_b64_e32 v[0:1], v[16:17]
	v_mov_b64_e32 v[2:3], v[18:19]
	s_waitcnt vmcnt(4)
	v_mfma_f32_32x32x16_fp8_fp8 v[40:55], v[20:21], v[0:1], v[40:55]
	v_mfma_f32_32x32x16_fp8_fp8 v[40:55], v[22:23], v[2:3], v[40:55]
	scratch_load_dwordx4 v[0:3], off, off offset:1856 ; 16-byte Folded Reload
	scratch_load_dwordx4 v[4:7], off, off offset:1872 ; 16-byte Folded Reload
	;; [unrolled: 1-line block ×4, first 2 shown]
	s_waitcnt vmcnt(0)
	scratch_store_dwordx4 off, v[12:15], off offset:496
	scratch_store_dwordx4 off, v[8:11], off offset:480
	scratch_store_dwordx4 off, v[4:7], off offset:464
	scratch_store_dwordx4 off, v[0:3], off offset:448
	scratch_load_dwordx4 v[0:3], off, off offset:1792 ; 16-byte Folded Reload
	s_nop 0
	scratch_load_dwordx4 v[4:7], off, off offset:1808 ; 16-byte Folded Reload
	scratch_load_dwordx4 v[8:11], off, off offset:1824 ; 16-byte Folded Reload
	scratch_load_dwordx4 v[12:15], off, off offset:1840 ; 16-byte Folded Reload
	s_waitcnt vmcnt(0)
	scratch_store_dwordx4 off, v[12:15], off offset:560
	scratch_store_dwordx4 off, v[8:11], off offset:544
	scratch_store_dwordx4 off, v[4:7], off offset:528
	scratch_store_dwordx4 off, v[0:3], off offset:512
	scratch_load_dwordx4 v[0:3], off, off offset:1728 ; 16-byte Folded Reload
	s_nop 0
	scratch_load_dwordx4 v[4:7], off, off offset:1744 ; 16-byte Folded Reload
	scratch_load_dwordx4 v[8:11], off, off offset:1760 ; 16-byte Folded Reload
	scratch_load_dwordx4 v[12:15], off, off offset:1776 ; 16-byte Folded Reload
	;; [unrolled: 10-line block ×6, first 2 shown]
	s_waitcnt vmcnt(0)
	scratch_store_dwordx4 off, v[12:15], off offset:880
	scratch_store_dwordx4 off, v[8:11], off offset:864
	;; [unrolled: 1-line block ×7, first 2 shown]
	scratch_store_dwordx4 off, v[56:59], off offset:2528 ; 16-byte Folded Spill
	s_nop 0
	scratch_store_dwordx4 off, v[60:63], off offset:2544 ; 16-byte Folded Spill
	scratch_store_dwordx4 off, v[64:67], off offset:2560 ; 16-byte Folded Spill
	;; [unrolled: 1-line block ×3, first 2 shown]
	scratch_store_dwordx4 off, v[56:59], off offset:896
	scratch_load_dwordx4 v[2:5], off, off offset:1592 ; 16-byte Folded Reload
	scratch_load_dwordx4 v[6:9], off, off offset:1608 ; 16-byte Folded Reload
	;; [unrolled: 1-line block ×4, first 2 shown]
	v_mfma_f32_32x32x16_fp8_fp8 v[24:39], v[20:21], v[120:121], v[24:39]
	scratch_store_dwordx4 off, v[116:119], off offset:1008
	scratch_store_dwordx4 off, v[112:115], off offset:992
	;; [unrolled: 1-line block ×3, first 2 shown]
	scratch_store_dwordx4 off, v[104:107], off offset:2464 ; 16-byte Folded Spill
	s_nop 0
	scratch_store_dwordx4 off, v[108:111], off offset:2480 ; 16-byte Folded Spill
	scratch_store_dwordx4 off, v[112:115], off offset:2496 ; 16-byte Folded Spill
	;; [unrolled: 1-line block ×3, first 2 shown]
	scratch_store_dwordx4 off, v[104:107], off offset:960
	s_nop 0
	v_mov_b64_e32 v[118:119], v[86:87]
	v_mov_b64_e32 v[116:117], v[84:85]
	;; [unrolled: 1-line block ×5, first 2 shown]
	v_mfma_f32_32x32x16_fp8_fp8 v[88:103], v[20:21], v[124:125], v[88:103]
	v_mov_b64_e32 v[108:109], v[76:77]
	v_mov_b64_e32 v[106:107], v[74:75]
	;; [unrolled: 1-line block ×3, first 2 shown]
	v_mfma_f32_32x32x16_fp8_fp8 v[24:39], v[22:23], v[122:123], v[24:39]
	v_mfma_f32_32x32x16_fp8_fp8 v[88:103], v[22:23], v[126:127], v[88:103]
	s_waitcnt vmcnt(8)
	scratch_store_dwordx4 off, v[14:17], off offset:1072
	scratch_store_dwordx4 off, v[10:13], off offset:1056
	;; [unrolled: 1-line block ×8, first 2 shown]
	s_nop 0
	scratch_store_dwordx4 off, v[36:39], off offset:1200
	scratch_store_dwordx4 off, v[32:35], off offset:1184
	;; [unrolled: 1-line block ×12, first 2 shown]
.LBB37_25:                              ;   in Loop: Header=BB37_9 Depth=2
	s_or_b64 exec, exec, s[2:3]
	scratch_load_dwordx2 v[22:23], off, off offset:1520 ; 8-byte Folded Reload
	scratch_load_dwordx2 v[20:21], off, off offset:1656 ; 8-byte Folded Reload
	s_addk_i32 s41, 0x400
	s_cmp_ge_u32 s41, s20
	s_waitcnt vmcnt(1)
	v_add_u32_e32 v22, 0x400, v22
	s_cbranch_scc1 .LBB37_27
; %bb.26:                               ;   in Loop: Header=BB37_9 Depth=2
	scratch_store_dwordx2 off, v[22:23], off offset:1520 ; 8-byte Folded Spill
	s_branch .LBB37_9
.LBB37_27:                              ;   in Loop: Header=BB37_7 Depth=1
	scratch_load_dwordx4 v[0:3], off, off offset:2400 ; 16-byte Folded Reload
	scratch_load_dwordx4 v[4:7], off, off offset:2416 ; 16-byte Folded Reload
	;; [unrolled: 1-line block ×4, first 2 shown]
	s_waitcnt vmcnt(0)
	scratch_store_dwordx4 off, v[12:15], off offset:176
	scratch_store_dwordx4 off, v[8:11], off offset:160
	scratch_store_dwordx4 off, v[4:7], off offset:144
	scratch_store_dwordx4 off, v[0:3], off offset:128
	scratch_load_dwordx4 v[0:3], off, off offset:2336 ; 16-byte Folded Reload
	s_nop 0
	scratch_load_dwordx4 v[4:7], off, off offset:2352 ; 16-byte Folded Reload
	scratch_load_dwordx4 v[8:11], off, off offset:2368 ; 16-byte Folded Reload
	scratch_load_dwordx4 v[12:15], off, off offset:2384 ; 16-byte Folded Reload
	s_waitcnt vmcnt(0)
	scratch_store_dwordx4 off, v[12:15], off offset:240
	scratch_store_dwordx4 off, v[8:11], off offset:224
	scratch_store_dwordx4 off, v[4:7], off offset:208
	scratch_store_dwordx4 off, v[0:3], off offset:192
	scratch_load_dwordx4 v[0:3], off, off offset:2272 ; 16-byte Folded Reload
	s_nop 0
	scratch_load_dwordx4 v[4:7], off, off offset:2288 ; 16-byte Folded Reload
	scratch_load_dwordx4 v[8:11], off, off offset:2304 ; 16-byte Folded Reload
	scratch_load_dwordx4 v[12:15], off, off offset:2320 ; 16-byte Folded Reload
	s_waitcnt vmcnt(0)
	scratch_store_dwordx4 off, v[12:15], off offset:304
	scratch_store_dwordx4 off, v[8:11], off offset:288
	scratch_store_dwordx4 off, v[4:7], off offset:272
	scratch_store_dwordx4 off, v[0:3], off offset:256
	scratch_load_dwordx4 v[0:3], off, off offset:2208 ; 16-byte Folded Reload
	s_nop 0
	scratch_load_dwordx4 v[4:7], off, off offset:2224 ; 16-byte Folded Reload
	scratch_load_dwordx4 v[8:11], off, off offset:2240 ; 16-byte Folded Reload
	scratch_load_dwordx4 v[12:15], off, off offset:2256 ; 16-byte Folded Reload
	s_waitcnt vmcnt(0)
	scratch_store_dwordx4 off, v[12:15], off offset:368
	scratch_store_dwordx4 off, v[8:11], off offset:352
	scratch_store_dwordx4 off, v[4:7], off offset:336
	scratch_store_dwordx4 off, v[0:3], off offset:320
	scratch_load_dwordx4 v[0:3], off, off offset:2144 ; 16-byte Folded Reload
	s_nop 0
	scratch_load_dwordx4 v[4:7], off, off offset:2160 ; 16-byte Folded Reload
	scratch_load_dwordx4 v[8:11], off, off offset:2176 ; 16-byte Folded Reload
	scratch_load_dwordx4 v[12:15], off, off offset:2192 ; 16-byte Folded Reload
	s_waitcnt vmcnt(0)
	scratch_store_dwordx4 off, v[12:15], off offset:432
	scratch_store_dwordx4 off, v[8:11], off offset:416
	scratch_store_dwordx4 off, v[4:7], off offset:400
	scratch_store_dwordx4 off, v[0:3], off offset:384
	scratch_load_dwordx4 v[0:3], off, off offset:2080 ; 16-byte Folded Reload
	s_nop 0
	scratch_load_dwordx4 v[4:7], off, off offset:2096 ; 16-byte Folded Reload
	scratch_load_dwordx4 v[8:11], off, off offset:2112 ; 16-byte Folded Reload
	scratch_load_dwordx4 v[12:15], off, off offset:2128 ; 16-byte Folded Reload
	s_waitcnt vmcnt(0)
	scratch_store_dwordx4 off, v[12:15], off offset:48
	scratch_store_dwordx4 off, v[8:11], off offset:32
	;; [unrolled: 1-line block ×3, first 2 shown]
	scratch_store_dwordx4 off, v[0:3], off
	scratch_load_dwordx4 v[0:3], off, off offset:1528 ; 16-byte Folded Reload
	s_nop 0
	scratch_load_dwordx4 v[4:7], off, off offset:1544 ; 16-byte Folded Reload
	scratch_load_dwordx4 v[8:11], off, off offset:1560 ; 16-byte Folded Reload
	scratch_load_dwordx4 v[12:15], off, off offset:1576 ; 16-byte Folded Reload
	s_waitcnt vmcnt(0)
	scratch_store_dwordx4 off, v[12:15], off offset:112
	scratch_store_dwordx4 off, v[8:11], off offset:96
	scratch_store_dwordx4 off, v[4:7], off offset:80
	scratch_store_dwordx4 off, v[0:3], off offset:64
	scratch_load_dword v21, off, off offset:2880 ; 4-byte Folded Reload
.LBB37_28:                              ;   in Loop: Header=BB37_7 Depth=1
	s_mov_b32 s2, 0
.LBB37_29:                              ;   Parent Loop BB37_7 Depth=1
                                        ; =>  This Inner Loop Header: Depth=2
	s_add_i32 s3, s2, 0
	scratch_load_dwordx4 v[0:3], off, s3 offset:48
	scratch_load_dwordx4 v[4:7], off, s3 offset:32
	scratch_load_dwordx4 v[8:11], off, s3
	scratch_load_dwordx4 v[12:15], off, s3 offset:16
	s_add_i32 s2, s2, 64
	s_cmpk_lg_i32 s2, 0x1c0
	s_waitcnt vmcnt(2)
	;;#ASMSTART
	v_add_f32 v4, v5, v4 row_shl:1 bound_ctrl:0 
	;;#ASMEND
	s_nop 0
	;;#ASMSTART
	v_add_f32 v4, v6, v4 row_shl:2 bound_ctrl:0 
	;;#ASMEND
	s_waitcnt vmcnt(1)
	;;#ASMSTART
	v_add_f32 v8, v9, v8 row_shl:1 bound_ctrl:0 
	;;#ASMEND
	;;#ASMSTART
	v_add_f32 v4, v7, v4 row_shl:3 bound_ctrl:0 
	;;#ASMEND
	s_nop 0
	;;#ASMSTART
	v_add_f32 v8, v10, v8 row_shl:2 bound_ctrl:0 
	;;#ASMEND
	;;#ASMSTART
	v_add_f32 v4, v0, v4 row_shl:8 bound_ctrl:0 
	;;#ASMEND
	s_nop 0
	;;#ASMSTART
	v_add_f32 v8, v11, v8 row_shl:3 bound_ctrl:0 
	;;#ASMEND
	;;#ASMSTART
	v_add_f32 v4, v1, v4 row_shl:9 bound_ctrl:0 
	;;#ASMEND
	s_waitcnt vmcnt(0)
	;;#ASMSTART
	v_add_f32 v8, v12, v8 row_shl:8 bound_ctrl:0 
	;;#ASMEND
	;;#ASMSTART
	v_add_f32 v4, v2, v4 row_shl:10 bound_ctrl:0 
	;;#ASMEND
	s_nop 0
	;;#ASMSTART
	v_add_f32 v8, v13, v8 row_shl:9 bound_ctrl:0 
	;;#ASMEND
	;;#ASMSTART
	v_add_f32 v4, v3, v4 row_shl:11 bound_ctrl:0 
	;;#ASMEND
	ds_bpermute_b32 v0, v21, v4 offset:208
	;;#ASMSTART
	v_add_f32 v8, v14, v8 row_shl:10 bound_ctrl:0 
	;;#ASMEND
	s_waitcnt lgkmcnt(0)
	v_add_f32_e32 v0, v4, v0
	;;#ASMSTART
	v_add_f32 v8, v15, v8 row_shl:11 bound_ctrl:0 
	;;#ASMEND
	ds_bpermute_b32 v1, v21, v8 offset:144
	ds_bpermute_b32 v0, v21, v0 offset:64
	s_waitcnt lgkmcnt(1)
	v_add_f32_e32 v1, v8, v1
	s_waitcnt lgkmcnt(0)
	v_add_f32_e32 v0, v1, v0
	scratch_store_dword off, v0, s3
	s_cbranch_scc1 .LBB37_29
; %bb.30:                               ;   in Loop: Header=BB37_7 Depth=1
	v_or_b32_e32 v0, 0x90, v21
	v_or_b32_e32 v1, 0xd0, v21
	;; [unrolled: 1-line block ×3, first 2 shown]
	s_movk_i32 s2, 0x1c0
.LBB37_31:                              ;   Parent Loop BB37_7 Depth=1
                                        ; =>  This Inner Loop Header: Depth=2
	s_add_i32 s3, s2, 0
	scratch_load_dwordx4 v[4:7], off, s3 offset:48
	scratch_load_dwordx4 v[8:11], off, s3 offset:32
	scratch_load_dwordx4 v[12:15], off, s3
	scratch_load_dwordx4 v[16:19], off, s3 offset:16
	s_add_i32 s2, s2, 64
	s_cmpk_lg_i32 s2, 0x380
	s_waitcnt vmcnt(2)
	;;#ASMSTART
	v_add_f32 v8, v9, v8 row_shl:1 bound_ctrl:0 
	;;#ASMEND
	s_nop 0
	;;#ASMSTART
	v_add_f32 v8, v10, v8 row_shl:2 bound_ctrl:0 
	;;#ASMEND
	s_waitcnt vmcnt(1)
	;;#ASMSTART
	v_add_f32 v12, v13, v12 row_shl:1 bound_ctrl:0 
	;;#ASMEND
	;;#ASMSTART
	v_add_f32 v8, v11, v8 row_shl:3 bound_ctrl:0 
	;;#ASMEND
	s_nop 0
	;;#ASMSTART
	v_add_f32 v12, v14, v12 row_shl:2 bound_ctrl:0 
	;;#ASMEND
	;;#ASMSTART
	v_add_f32 v8, v4, v8 row_shl:8 bound_ctrl:0 
	;;#ASMEND
	s_nop 0
	;;#ASMSTART
	v_add_f32 v12, v15, v12 row_shl:3 bound_ctrl:0 
	;;#ASMEND
	;;#ASMSTART
	v_add_f32 v8, v5, v8 row_shl:9 bound_ctrl:0 
	;;#ASMEND
	s_waitcnt vmcnt(0)
	;;#ASMSTART
	v_add_f32 v12, v16, v12 row_shl:8 bound_ctrl:0 
	;;#ASMEND
	;;#ASMSTART
	v_add_f32 v8, v6, v8 row_shl:10 bound_ctrl:0 
	;;#ASMEND
	s_nop 0
	;;#ASMSTART
	v_add_f32 v12, v17, v12 row_shl:9 bound_ctrl:0 
	;;#ASMEND
	;;#ASMSTART
	v_add_f32 v8, v7, v8 row_shl:11 bound_ctrl:0 
	;;#ASMEND
	ds_bpermute_b32 v3, v1, v8
	;;#ASMSTART
	v_add_f32 v12, v18, v12 row_shl:10 bound_ctrl:0 
	;;#ASMEND
	s_waitcnt lgkmcnt(0)
	v_add_f32_e32 v3, v8, v3
	;;#ASMSTART
	v_add_f32 v12, v19, v12 row_shl:11 bound_ctrl:0 
	;;#ASMEND
	ds_bpermute_b32 v4, v0, v12
	ds_bpermute_b32 v3, v2, v3
	s_waitcnt lgkmcnt(1)
	v_add_f32_e32 v4, v12, v4
	s_waitcnt lgkmcnt(0)
	v_add_f32_e32 v3, v4, v3
	scratch_store_dword off, v3, s3
	s_cbranch_scc1 .LBB37_31
; %bb.32:                               ;   in Loop: Header=BB37_7 Depth=1
	s_movk_i32 s2, 0x380
.LBB37_33:                              ;   Parent Loop BB37_7 Depth=1
                                        ; =>  This Inner Loop Header: Depth=2
	s_add_i32 s3, s2, 0
	scratch_load_dwordx4 v[4:7], off, s3 offset:48
	scratch_load_dwordx4 v[8:11], off, s3 offset:32
	scratch_load_dwordx4 v[12:15], off, s3
	scratch_load_dwordx4 v[16:19], off, s3 offset:16
	s_add_i32 s2, s2, 64
	s_cmpk_lg_i32 s2, 0x540
	s_waitcnt vmcnt(2)
	;;#ASMSTART
	v_add_f32 v8, v9, v8 row_shl:1 bound_ctrl:0 
	;;#ASMEND
	s_nop 0
	;;#ASMSTART
	v_add_f32 v8, v10, v8 row_shl:2 bound_ctrl:0 
	;;#ASMEND
	s_waitcnt vmcnt(1)
	;;#ASMSTART
	v_add_f32 v12, v13, v12 row_shl:1 bound_ctrl:0 
	;;#ASMEND
	;;#ASMSTART
	v_add_f32 v8, v11, v8 row_shl:3 bound_ctrl:0 
	;;#ASMEND
	s_nop 0
	;;#ASMSTART
	v_add_f32 v12, v14, v12 row_shl:2 bound_ctrl:0 
	;;#ASMEND
	;;#ASMSTART
	v_add_f32 v8, v4, v8 row_shl:8 bound_ctrl:0 
	;;#ASMEND
	s_nop 0
	;;#ASMSTART
	v_add_f32 v12, v15, v12 row_shl:3 bound_ctrl:0 
	;;#ASMEND
	;;#ASMSTART
	v_add_f32 v8, v5, v8 row_shl:9 bound_ctrl:0 
	;;#ASMEND
	s_waitcnt vmcnt(0)
	;;#ASMSTART
	v_add_f32 v12, v16, v12 row_shl:8 bound_ctrl:0 
	;;#ASMEND
	;;#ASMSTART
	v_add_f32 v8, v6, v8 row_shl:10 bound_ctrl:0 
	;;#ASMEND
	s_nop 0
	;;#ASMSTART
	v_add_f32 v12, v17, v12 row_shl:9 bound_ctrl:0 
	;;#ASMEND
	;;#ASMSTART
	v_add_f32 v8, v7, v8 row_shl:11 bound_ctrl:0 
	;;#ASMEND
	ds_bpermute_b32 v3, v1, v8
	;;#ASMSTART
	v_add_f32 v12, v18, v12 row_shl:10 bound_ctrl:0 
	;;#ASMEND
	s_waitcnt lgkmcnt(0)
	v_add_f32_e32 v3, v8, v3
	;;#ASMSTART
	v_add_f32 v12, v19, v12 row_shl:11 bound_ctrl:0 
	;;#ASMEND
	ds_bpermute_b32 v4, v0, v12
	ds_bpermute_b32 v3, v2, v3
	s_waitcnt lgkmcnt(1)
	v_add_f32_e32 v4, v12, v4
	s_waitcnt lgkmcnt(0)
	v_add_f32_e32 v3, v4, v3
	scratch_store_dword off, v3, s3
	s_cbranch_scc1 .LBB37_33
; %bb.34:                               ;   in Loop: Header=BB37_7 Depth=1
	s_and_saveexec_b64 s[6:7], s[0:1]
	s_cbranch_execz .LBB37_6
; %bb.35:                               ;   in Loop: Header=BB37_7 Depth=1
	scratch_load_dwordx4 v[4:7], off, off
	v_mov_b32_e32 v8, v21
	v_mov_b32_e32 v21, v23
	v_add_u32_e32 v2, 1, v20
	v_lshl_add_u64 v[0:1], v[20:21], 1, s[28:29]
	v_cmp_gt_u32_e32 vcc, s22, v2
	s_waitcnt vmcnt(0)
	v_mul_f32_e32 v3, s23, v4
	v_fma_mixlo_f16 v3, s33, v3, 0
	global_store_short v[0:1], v3, off
	s_and_saveexec_b64 s[8:9], vcc
	s_cbranch_execz .LBB37_42
; %bb.36:                               ;   in Loop: Header=BB37_7 Depth=1
	scratch_load_dwordx4 v[4:7], off, off offset:64
	v_add_u32_e32 v3, 2, v20
	v_cmp_gt_u32_e64 s[2:3], s22, v3
	s_waitcnt vmcnt(0)
	v_mul_f32_e32 v4, s23, v4
	v_fma_mixlo_f16 v4, s33, v4, 0
	global_store_short v[0:1], v4, off offset:2
	s_and_b64 exec, exec, s[2:3]
	s_cbranch_execz .LBB37_42
; %bb.37:                               ;   in Loop: Header=BB37_7 Depth=1
	scratch_load_dwordx4 v[4:7], off, off offset:128
	v_add_u32_e32 v3, 3, v20
	v_cmp_gt_u32_e64 s[2:3], s22, v3
	s_waitcnt vmcnt(0)
	v_mul_f32_e32 v4, s23, v4
	v_fma_mixlo_f16 v4, s33, v4, 0
	global_store_short v[0:1], v4, off offset:4
	s_and_b64 exec, exec, s[2:3]
	;; [unrolled: 10-line block ×5, first 2 shown]
	s_cbranch_execz .LBB37_42
; %bb.41:                               ;   in Loop: Header=BB37_7 Depth=1
	scratch_load_dwordx4 v[4:7], off, off offset:384
	s_waitcnt vmcnt(0)
	v_mul_f32_e32 v3, s23, v4
	v_fma_mixlo_f16 v3, s33, v3, 0
	global_store_short v[0:1], v3, off offset:12
.LBB37_42:                              ;   in Loop: Header=BB37_7 Depth=1
	s_or_b64 exec, exec, s[8:9]
	scratch_load_dwordx4 v[4:7], off, off offset:448
	v_add_u32_e32 v22, s22, v20
	s_waitcnt vmcnt(0)
	v_mul_f32_e32 v0, s23, v4
	v_fma_mixlo_f16 v3, s33, v0, 0
	v_lshl_add_u64 v[0:1], v[22:23], 1, s[28:29]
	global_store_short v[0:1], v3, off
	s_and_saveexec_b64 s[8:9], vcc
	s_cbranch_execz .LBB37_49
; %bb.43:                               ;   in Loop: Header=BB37_7 Depth=1
	scratch_load_dwordx4 v[4:7], off, off offset:512
	s_waitcnt vmcnt(0)
	v_add_u32_e32 v6, s22, v2
	v_mov_b32_e32 v7, v23
	v_add_u32_e32 v0, 2, v20
	v_lshl_add_u64 v[6:7], v[6:7], 1, s[28:29]
	v_cmp_gt_u32_e64 s[2:3], s22, v0
	v_mul_f32_e32 v1, s23, v4
	v_fma_mixlo_f16 v1, s33, v1, 0
	global_store_short v[6:7], v1, off
	s_and_b64 exec, exec, s[2:3]
	s_cbranch_execz .LBB37_49
; %bb.44:                               ;   in Loop: Header=BB37_7 Depth=1
	scratch_load_dwordx4 v[4:7], off, off offset:576
	s_waitcnt vmcnt(0)
	v_add_u32_e32 v6, s22, v0
	v_mov_b32_e32 v7, v23
	v_add_u32_e32 v0, 3, v20
	v_lshl_add_u64 v[6:7], v[6:7], 1, s[28:29]
	v_cmp_gt_u32_e64 s[2:3], s22, v0
	v_mul_f32_e32 v1, s23, v4
	v_fma_mixlo_f16 v1, s33, v1, 0
	global_store_short v[6:7], v1, off
	s_and_b64 exec, exec, s[2:3]
	;; [unrolled: 13-line block ×5, first 2 shown]
	s_cbranch_execz .LBB37_49
; %bb.48:                               ;   in Loop: Header=BB37_7 Depth=1
	scratch_load_dwordx4 v[4:7], off, off offset:832
	v_add_u32_e32 v0, s22, v0
	v_mov_b32_e32 v1, v23
	v_lshl_add_u64 v[0:1], v[0:1], 1, s[28:29]
	s_waitcnt vmcnt(0)
	v_mul_f32_e32 v3, s23, v4
	v_fma_mixlo_f16 v3, s33, v3, 0
	global_store_short v[0:1], v3, off
.LBB37_49:                              ;   in Loop: Header=BB37_7 Depth=1
	s_or_b64 exec, exec, s[8:9]
	scratch_load_dwordx4 v[4:7], off, off offset:896
	v_add_u32_e32 v22, s22, v22
	s_and_b64 s[2:3], exec, vcc
	v_mov_b32_e32 v21, v8
	s_waitcnt vmcnt(0)
	v_mul_f32_e32 v0, s23, v4
	v_fma_mixlo_f16 v3, s33, v0, 0
	v_lshl_add_u64 v[0:1], v[22:23], 1, s[28:29]
	global_store_short v[0:1], v3, off
	s_mov_b64 exec, s[2:3]
	s_cbranch_execz .LBB37_6
; %bb.50:                               ;   in Loop: Header=BB37_7 Depth=1
	scratch_load_dwordx4 v[4:7], off, off offset:960
	v_add_u32_e32 v22, s39, v2
	v_add_u32_e32 v0, 2, v20
	s_waitcnt vmcnt(0)
	v_mov_b32_e32 v6, v21
	v_lshl_add_u64 v[2:3], v[22:23], 1, s[28:29]
	v_cmp_gt_u32_e32 vcc, s22, v0
	v_mul_f32_e32 v1, s23, v4
	v_fma_mixlo_f16 v1, s33, v1, 0
	global_store_short v[2:3], v1, off
	s_and_b64 exec, exec, vcc
	s_cbranch_execz .LBB37_6
; %bb.51:                               ;   in Loop: Header=BB37_7 Depth=1
	scratch_load_dwordx4 v[2:5], off, off offset:1024
	v_add_u32_e32 v22, s39, v0
	v_add_u32_e32 v0, 3, v20
	s_waitcnt vmcnt(0)
	v_lshl_add_u64 v[4:5], v[22:23], 1, s[28:29]
	v_mov_b32_e32 v21, v6
	v_cmp_gt_u32_e32 vcc, s22, v0
	v_mul_f32_e32 v1, s23, v2
	v_fma_mixlo_f16 v1, s33, v1, 0
	global_store_short v[4:5], v1, off
	s_and_b64 exec, exec, vcc
	s_cbranch_execz .LBB37_6
; %bb.52:                               ;   in Loop: Header=BB37_7 Depth=1
	scratch_load_dwordx4 v[2:5], off, off offset:1088
	v_add_u32_e32 v22, s39, v0
	v_add_u32_e32 v0, 4, v20
	s_waitcnt vmcnt(0)
	v_lshl_add_u64 v[4:5], v[22:23], 1, s[28:29]
	v_mov_b32_e32 v21, v6
	;; [unrolled: 13-line block ×4, first 2 shown]
	v_cmp_gt_u32_e32 vcc, s22, v0
	v_mul_f32_e32 v1, s23, v2
	v_fma_mixlo_f16 v1, s33, v1, 0
	global_store_short v[4:5], v1, off
	s_and_b64 exec, exec, vcc
	s_cbranch_execz .LBB37_6
; %bb.55:                               ;   in Loop: Header=BB37_7 Depth=1
	scratch_load_dwordx4 v[2:5], off, off offset:1280
	v_add_u32_e32 v22, s39, v0
	v_mov_b32_e32 v21, v6
	s_waitcnt vmcnt(0)
	v_mul_f32_e32 v0, s23, v2
	v_fma_mixlo_f16 v2, s33, v0, 0
	v_lshl_add_u64 v[0:1], v[22:23], 1, s[28:29]
	global_store_short v[0:1], v2, off
	s_branch .LBB37_6
.LBB37_56:
	s_endpgm
	.section	.rodata,"a",@progbits
	.p2align	6, 0x0
	.amdhsa_kernel _Z13wvSplitKQ_hf_I6__halfN3c1013Float8_e4m3fnELi64ELi7ELi16ELi16ELi1ELi3EEviiiPKT0_S5_PT_PKfS9_ii
		.amdhsa_group_segment_fixed_size 65536
		.amdhsa_private_segment_fixed_size 2944
		.amdhsa_kernarg_size 64
		.amdhsa_user_sgpr_count 2
		.amdhsa_user_sgpr_dispatch_ptr 0
		.amdhsa_user_sgpr_queue_ptr 0
		.amdhsa_user_sgpr_kernarg_segment_ptr 1
		.amdhsa_user_sgpr_dispatch_id 0
		.amdhsa_user_sgpr_kernarg_preload_length 0
		.amdhsa_user_sgpr_kernarg_preload_offset 0
		.amdhsa_user_sgpr_private_segment_size 0
		.amdhsa_uses_dynamic_stack 0
		.amdhsa_enable_private_segment 1
		.amdhsa_system_sgpr_workgroup_id_x 1
		.amdhsa_system_sgpr_workgroup_id_y 0
		.amdhsa_system_sgpr_workgroup_id_z 0
		.amdhsa_system_sgpr_workgroup_info 0
		.amdhsa_system_vgpr_workitem_id 1
		.amdhsa_next_free_vgpr 128
		.amdhsa_next_free_sgpr 42
		.amdhsa_accum_offset 128
		.amdhsa_reserve_vcc 1
		.amdhsa_float_round_mode_32 0
		.amdhsa_float_round_mode_16_64 0
		.amdhsa_float_denorm_mode_32 3
		.amdhsa_float_denorm_mode_16_64 3
		.amdhsa_dx10_clamp 1
		.amdhsa_ieee_mode 1
		.amdhsa_fp16_overflow 0
		.amdhsa_tg_split 0
		.amdhsa_exception_fp_ieee_invalid_op 0
		.amdhsa_exception_fp_denorm_src 0
		.amdhsa_exception_fp_ieee_div_zero 0
		.amdhsa_exception_fp_ieee_overflow 0
		.amdhsa_exception_fp_ieee_underflow 0
		.amdhsa_exception_fp_ieee_inexact 0
		.amdhsa_exception_int_div_zero 0
	.end_amdhsa_kernel
	.section	.text._Z13wvSplitKQ_hf_I6__halfN3c1013Float8_e4m3fnELi64ELi7ELi16ELi16ELi1ELi3EEviiiPKT0_S5_PT_PKfS9_ii,"axG",@progbits,_Z13wvSplitKQ_hf_I6__halfN3c1013Float8_e4m3fnELi64ELi7ELi16ELi16ELi1ELi3EEviiiPKT0_S5_PT_PKfS9_ii,comdat
.Lfunc_end37:
	.size	_Z13wvSplitKQ_hf_I6__halfN3c1013Float8_e4m3fnELi64ELi7ELi16ELi16ELi1ELi3EEviiiPKT0_S5_PT_PKfS9_ii, .Lfunc_end37-_Z13wvSplitKQ_hf_I6__halfN3c1013Float8_e4m3fnELi64ELi7ELi16ELi16ELi1ELi3EEviiiPKT0_S5_PT_PKfS9_ii
                                        ; -- End function
	.section	.AMDGPU.csdata,"",@progbits
; Kernel info:
; codeLenInByte = 8140
; NumSgprs: 48
; NumVgprs: 128
; NumAgprs: 0
; TotalNumVgprs: 128
; ScratchSize: 2944
; MemoryBound: 1
; FloatMode: 240
; IeeeMode: 1
; LDSByteSize: 65536 bytes/workgroup (compile time only)
; SGPRBlocks: 5
; VGPRBlocks: 15
; NumSGPRsForWavesPerEU: 48
; NumVGPRsForWavesPerEU: 128
; AccumOffset: 128
; Occupancy: 4
; WaveLimiterHint : 1
; COMPUTE_PGM_RSRC2:SCRATCH_EN: 1
; COMPUTE_PGM_RSRC2:USER_SGPR: 2
; COMPUTE_PGM_RSRC2:TRAP_HANDLER: 0
; COMPUTE_PGM_RSRC2:TGID_X_EN: 1
; COMPUTE_PGM_RSRC2:TGID_Y_EN: 0
; COMPUTE_PGM_RSRC2:TGID_Z_EN: 0
; COMPUTE_PGM_RSRC2:TIDIG_COMP_CNT: 1
; COMPUTE_PGM_RSRC3_GFX90A:ACCUM_OFFSET: 31
; COMPUTE_PGM_RSRC3_GFX90A:TG_SPLIT: 0
	.section	.text._Z17wvSplitKQ_hf_sml_I6__halfN3c1013Float8_e4m3fnELi64ELi4ELi16ELi16ELi1ELi4EEviiiPKT0_S5_PT_PKfS9_ii,"axG",@progbits,_Z17wvSplitKQ_hf_sml_I6__halfN3c1013Float8_e4m3fnELi64ELi4ELi16ELi16ELi1ELi4EEviiiPKT0_S5_PT_PKfS9_ii,comdat
	.protected	_Z17wvSplitKQ_hf_sml_I6__halfN3c1013Float8_e4m3fnELi64ELi4ELi16ELi16ELi1ELi4EEviiiPKT0_S5_PT_PKfS9_ii ; -- Begin function _Z17wvSplitKQ_hf_sml_I6__halfN3c1013Float8_e4m3fnELi64ELi4ELi16ELi16ELi1ELi4EEviiiPKT0_S5_PT_PKfS9_ii
	.globl	_Z17wvSplitKQ_hf_sml_I6__halfN3c1013Float8_e4m3fnELi64ELi4ELi16ELi16ELi1ELi4EEviiiPKT0_S5_PT_PKfS9_ii
	.p2align	8
	.type	_Z17wvSplitKQ_hf_sml_I6__halfN3c1013Float8_e4m3fnELi64ELi4ELi16ELi16ELi1ELi4EEviiiPKT0_S5_PT_PKfS9_ii,@function
_Z17wvSplitKQ_hf_sml_I6__halfN3c1013Float8_e4m3fnELi64ELi4ELi16ELi16ELi1ELi4EEviiiPKT0_S5_PT_PKfS9_ii: ; @_Z17wvSplitKQ_hf_sml_I6__halfN3c1013Float8_e4m3fnELi64ELi4ELi16ELi16ELi1ELi4EEviiiPKT0_S5_PT_PKfS9_ii
; %bb.0:
	s_load_dwordx4 s[4:7], s[0:1], 0x0
	s_load_dwordx4 s[8:11], s[0:1], 0x28
	v_bfe_u32 v1, v0, 10, 10
	v_and_b32_e32 v0, 0x3ff, v0
	v_lshlrev_b32_e32 v106, 4, v0
	s_waitcnt lgkmcnt(0)
	s_lshl_b32 s3, s4, 2
	v_lshl_add_u32 v2, v1, 10, v106
	s_min_i32 s3, s3, 0x10000
	v_cmp_gt_u32_e32 vcc, s3, v2
	s_and_saveexec_b64 s[12:13], vcc
	s_cbranch_execz .LBB38_3
; %bb.1:
	s_load_dwordx2 s[14:15], s[0:1], 0x18
	s_mov_b64 s[16:17], 0
.LBB38_2:                               ; =>This Inner Loop Header: Depth=1
	s_waitcnt lgkmcnt(0)
	global_load_dwordx4 v[4:7], v2, s[14:15]
	s_waitcnt vmcnt(0)
	ds_write_b128 v2, v[4:7]
	v_add_u32_e32 v2, 0x4000, v2
	v_cmp_le_u32_e32 vcc, s3, v2
	s_or_b64 s[16:17], vcc, s[16:17]
	s_andn2_b64 exec, exec, s[16:17]
	s_cbranch_execnz .LBB38_2
.LBB38_3:
	s_or_b64 exec, exec, s[12:13]
	s_load_dwordx2 s[14:15], s[0:1], 0x38
	s_waitcnt lgkmcnt(0)
	s_barrier
	v_cmp_gt_u32_e32 vcc, s14, v1
	s_and_saveexec_b64 s[12:13], vcc
	s_cbranch_execz .LBB38_17
; %bb.4:
	s_mul_i32 s2, s2, s14
	v_add_u32_e32 v1, s2, v1
	v_lshlrev_b32_e32 v118, 2, v1
	v_cmp_gt_u32_e32 vcc, s6, v118
	s_and_b64 exec, exec, vcc
	s_cbranch_execz .LBB38_17
; %bb.5:
	s_load_dword s7, s[8:9], 0x0
	s_load_dword s22, s[10:11], 0x0
	s_load_dwordx2 s[2:3], s[0:1], 0x10
	s_load_dwordx2 s[12:13], s[0:1], 0x20
	s_mov_b32 s9, 0
	v_cmp_eq_u32_e64 s[0:1], 0, v0
	v_mul_lo_u32 v0, s5, v1
	s_mov_b32 s24, s9
	s_mov_b32 s25, s9
	v_mad_u64_u32 v[108:109], s[18:19], s4, 3, v[106:107]
	v_lshl_add_u32 v107, v0, 2, v106
	s_mov_b32 s26, s9
	s_mov_b32 s27, s9
	v_mov_b64_e32 v[0:1], s[24:25]
	v_mov_b64_e32 v[2:3], s[26:27]
	scratch_store_dwordx4 off, v[0:3], off offset:1928 ; 16-byte Folded Spill
	s_mul_i32 s20, s14, s15
	s_cmp_lg_u32 s4, 0
	v_mbcnt_lo_u32_b32 v0, -1, 0
	v_mbcnt_hi_u32_b32 v0, -1, v0
	s_cselect_b64 s[10:11], -1, 0
	s_lshl_b32 s23, s20, 2
	s_mul_i32 s20, s20, s5
	v_lshlrev_b32_e32 v0, 2, v0
	s_mov_b32 s8, s5
	s_lshl_b32 s14, s5, 1
	s_mov_b32 s15, s9
	s_mul_i32 s16, s5, 3
	s_mov_b32 s17, s9
	v_lshl_add_u32 v109, s4, 1, v106
	v_add_u32_e32 v110, s4, v106
	s_lshl_b32 s5, s20, 2
	s_mov_b64 s[18:19], 0
	v_mov_b32_e32 v105, 0
	v_and_b32_e32 v122, 0x100, v0
	scratch_store_dword off, v122, off offset:1944 ; 4-byte Folded Spill
	s_branch .LBB38_7
.LBB38_6:                               ;   in Loop: Header=BB38_7 Depth=1
	s_or_b64 exec, exec, s[20:21]
	v_add_u32_e32 v118, s23, v118
	v_cmp_le_u32_e32 vcc, s6, v118
	v_mov_b32_e32 v107, v121
	s_or_b64 s[18:19], vcc, s[18:19]
	v_add_u32_e32 v107, s5, v107
	v_mov_b32_e32 v106, v116
	v_mov_b32_e32 v108, v120
	v_mov_b32_e32 v109, v115
	v_mov_b32_e32 v110, v117
	s_andn2_b64 exec, exec, s[18:19]
	s_cbranch_execz .LBB38_17
.LBB38_7:                               ; =>This Loop Header: Depth=1
                                        ;     Child Loop BB38_10 Depth 2
                                        ;     Child Loop BB38_14 Depth 2
	scratch_load_dwordx4 v[0:3], off, off offset:1928 ; 16-byte Folded Reload
	s_and_b64 vcc, exec, s[10:11]
	s_waitcnt vmcnt(0)
	scratch_store_dwordx4 off, v[0:3], off offset:48
	scratch_store_dwordx4 off, v[0:3], off offset:32
	;; [unrolled: 1-line block ×3, first 2 shown]
	scratch_store_dwordx4 off, v[0:3], off
	scratch_store_dwordx4 off, v[0:3], off offset:304
	scratch_store_dwordx4 off, v[0:3], off offset:288
	;; [unrolled: 1-line block ×60, first 2 shown]
	s_cbranch_vccz .LBB38_13
; %bb.8:                                ;   in Loop: Header=BB38_7 Depth=1
	v_mov_b32_e32 v112, 0
	v_mov_b32_e32 v0, v112
	;; [unrolled: 1-line block ×33, first 2 shown]
	scratch_store_dwordx2 off, v[118:119], off offset:1920 ; 8-byte Folded Spill
	scratch_store_dwordx4 off, v[0:3], off offset:1472 ; 16-byte Folded Spill
	s_nop 0
	scratch_store_dwordx4 off, v[4:7], off offset:1488 ; 16-byte Folded Spill
	scratch_store_dwordx4 off, v[8:11], off offset:1504 ; 16-byte Folded Spill
	scratch_store_dwordx4 off, v[12:15], off offset:1520 ; 16-byte Folded Spill
	scratch_store_dwordx4 off, v[0:3], off offset:1600 ; 16-byte Folded Spill
	s_nop 0
	scratch_store_dwordx4 off, v[4:7], off offset:1616 ; 16-byte Folded Spill
	scratch_store_dwordx4 off, v[8:11], off offset:1632 ; 16-byte Folded Spill
	scratch_store_dwordx4 off, v[12:15], off offset:1648 ; 16-byte Folded Spill
	;; [unrolled: 5-line block ×6, first 2 shown]
	s_mov_b32 s24, 0
	v_mov_b32_e32 v113, v112
	v_mov_b32_e32 v114, v112
	;; [unrolled: 1-line block ×49, first 2 shown]
	scratch_store_dwordx4 off, v[60:63], off offset:1216 ; 16-byte Folded Spill
	s_nop 0
	scratch_store_dwordx4 off, v[64:67], off offset:1232 ; 16-byte Folded Spill
	scratch_store_dwordx4 off, v[68:71], off offset:1248 ; 16-byte Folded Spill
	scratch_store_dwordx4 off, v[72:75], off offset:1264 ; 16-byte Folded Spill
	scratch_store_dwordx4 off, v[40:43], off offset:1280 ; 16-byte Folded Spill
	s_nop 0
	scratch_store_dwordx4 off, v[44:47], off offset:1296 ; 16-byte Folded Spill
	scratch_store_dwordx4 off, v[48:51], off offset:1312 ; 16-byte Folded Spill
	scratch_store_dwordx4 off, v[52:55], off offset:1328 ; 16-byte Folded Spill
	;; [unrolled: 5-line block ×7, first 2 shown]
	s_branch .LBB38_10
.LBB38_9:                               ;   in Loop: Header=BB38_10 Depth=2
	s_or_b64 exec, exec, s[20:21]
	scratch_load_dwordx4 v[80:83], off, off offset:1728 ; 16-byte Folded Reload
	scratch_load_dwordx4 v[84:87], off, off offset:1744 ; 16-byte Folded Reload
	;; [unrolled: 1-line block ×12, first 2 shown]
	s_waitcnt vmcnt(15) lgkmcnt(0)
	v_mfma_f32_32x32x16_fp8_fp8 v[0:15], v[44:45], v[32:33], v[0:15]
	s_addk_i32 s24, 0x400
	s_cmp_ge_u32 s24, s4
	v_mfma_f32_32x32x16_fp8_fp8 v[0:15], v[46:47], v[34:35], v[0:15]
	v_mfma_f32_32x32x16_fp8_fp8 v[112:127], v[40:41], v[32:33], v[112:127]
	;; [unrolled: 1-line block ×3, first 2 shown]
	s_waitcnt vmcnt(8)
	v_mfma_f32_32x32x16_fp8_fp8 v[80:95], v[44:45], v[28:29], v[80:95]
	s_waitcnt vmcnt(4)
	v_mfma_f32_32x32x16_fp8_fp8 v[64:79], v[44:45], v[24:25], v[64:79]
	;; [unrolled: 2-line block ×3, first 2 shown]
	v_mfma_f32_32x32x16_fp8_fp8 v[80:95], v[46:47], v[30:31], v[80:95]
	s_nop 7
	s_nop 2
	scratch_store_dwordx4 off, v[80:83], off offset:1728 ; 16-byte Folded Spill
	s_nop 0
	scratch_store_dwordx4 off, v[84:87], off offset:1744 ; 16-byte Folded Spill
	scratch_store_dwordx4 off, v[88:91], off offset:1760 ; 16-byte Folded Spill
	scratch_store_dwordx4 off, v[92:95], off offset:1776 ; 16-byte Folded Spill
	v_mfma_f32_32x32x16_fp8_fp8 v[64:79], v[46:47], v[26:27], v[64:79]
	s_nop 7
	s_nop 2
	scratch_store_dwordx4 off, v[64:67], off offset:1600 ; 16-byte Folded Spill
	s_nop 0
	scratch_store_dwordx4 off, v[68:71], off offset:1616 ; 16-byte Folded Spill
	scratch_store_dwordx4 off, v[72:75], off offset:1632 ; 16-byte Folded Spill
	scratch_store_dwordx4 off, v[76:79], off offset:1648 ; 16-byte Folded Spill
	;; [unrolled: 8-line block ×3, first 2 shown]
	scratch_load_dwordx4 v[76:79], off, off offset:1792 ; 16-byte Folded Reload
	scratch_load_dwordx4 v[80:83], off, off offset:1808 ; 16-byte Folded Reload
	;; [unrolled: 1-line block ×4, first 2 shown]
	s_nop 0
	scratch_load_dwordx4 v[60:63], off, off offset:1664 ; 16-byte Folded Reload
	scratch_load_dwordx4 v[64:67], off, off offset:1680 ; 16-byte Folded Reload
	scratch_load_dwordx4 v[68:71], off, off offset:1696 ; 16-byte Folded Reload
	scratch_load_dwordx4 v[72:75], off, off offset:1712 ; 16-byte Folded Reload
	scratch_load_dwordx4 v[44:47], off, off offset:1536 ; 16-byte Folded Reload
	scratch_load_dwordx4 v[48:51], off, off offset:1552 ; 16-byte Folded Reload
	scratch_load_dwordx4 v[52:55], off, off offset:1568 ; 16-byte Folded Reload
	scratch_load_dwordx4 v[56:59], off, off offset:1584 ; 16-byte Folded Reload
	s_waitcnt vmcnt(8)
	v_mfma_f32_32x32x16_fp8_fp8 v[76:91], v[40:41], v[28:29], v[76:91]
	s_waitcnt vmcnt(4)
	v_mfma_f32_32x32x16_fp8_fp8 v[60:75], v[40:41], v[24:25], v[60:75]
	;; [unrolled: 2-line block ×3, first 2 shown]
	v_mfma_f32_32x32x16_fp8_fp8 v[76:91], v[42:43], v[30:31], v[76:91]
	s_nop 7
	s_nop 2
	scratch_store_dwordx4 off, v[76:79], off offset:1792 ; 16-byte Folded Spill
	s_nop 0
	scratch_store_dwordx4 off, v[80:83], off offset:1808 ; 16-byte Folded Spill
	scratch_store_dwordx4 off, v[84:87], off offset:1824 ; 16-byte Folded Spill
	scratch_store_dwordx4 off, v[88:91], off offset:1840 ; 16-byte Folded Spill
	v_mfma_f32_32x32x16_fp8_fp8 v[60:75], v[42:43], v[26:27], v[60:75]
	s_nop 7
	s_nop 2
	scratch_store_dwordx4 off, v[60:63], off offset:1664 ; 16-byte Folded Spill
	s_nop 0
	scratch_store_dwordx4 off, v[64:67], off offset:1680 ; 16-byte Folded Spill
	scratch_store_dwordx4 off, v[68:71], off offset:1696 ; 16-byte Folded Spill
	scratch_store_dwordx4 off, v[72:75], off offset:1712 ; 16-byte Folded Spill
	;; [unrolled: 8-line block ×3, first 2 shown]
	scratch_load_dwordx4 v[88:91], off, off offset:1408 ; 16-byte Folded Reload
	scratch_load_dwordx4 v[92:95], off, off offset:1424 ; 16-byte Folded Reload
	;; [unrolled: 1-line block ×16, first 2 shown]
	s_waitcnt vmcnt(12)
	v_mfma_f32_32x32x16_fp8_fp8 v[88:103], v[36:37], v[32:33], v[88:103]
	s_waitcnt vmcnt(8)
	v_mfma_f32_32x32x16_fp8_fp8 v[72:87], v[36:37], v[28:29], v[72:87]
	;; [unrolled: 2-line block ×4, first 2 shown]
	v_mfma_f32_32x32x16_fp8_fp8 v[88:103], v[38:39], v[34:35], v[88:103]
	s_nop 7
	s_nop 2
	scratch_store_dwordx4 off, v[88:91], off offset:1408 ; 16-byte Folded Spill
	s_nop 0
	scratch_store_dwordx4 off, v[92:95], off offset:1424 ; 16-byte Folded Spill
	scratch_store_dwordx4 off, v[96:99], off offset:1440 ; 16-byte Folded Spill
	scratch_store_dwordx4 off, v[100:103], off offset:1456 ; 16-byte Folded Spill
	v_mfma_f32_32x32x16_fp8_fp8 v[72:87], v[38:39], v[30:31], v[72:87]
	s_nop 7
	s_nop 2
	scratch_store_dwordx4 off, v[72:75], off offset:1344 ; 16-byte Folded Spill
	s_nop 0
	scratch_store_dwordx4 off, v[76:79], off offset:1360 ; 16-byte Folded Spill
	scratch_store_dwordx4 off, v[80:83], off offset:1376 ; 16-byte Folded Spill
	scratch_store_dwordx4 off, v[84:87], off offset:1392 ; 16-byte Folded Spill
	;; [unrolled: 8-line block ×4, first 2 shown]
	scratch_load_dwordx4 v[36:39], off, off offset:1152 ; 16-byte Folded Reload
	s_nop 0
	scratch_load_dwordx4 v[40:43], off, off offset:1168 ; 16-byte Folded Reload
	scratch_load_dwordx4 v[44:47], off, off offset:1184 ; 16-byte Folded Reload
	scratch_load_dwordx4 v[48:51], off, off offset:1200 ; 16-byte Folded Reload
	s_waitcnt vmcnt(0)
	v_mfma_f32_32x32x16_fp8_fp8 v[36:51], v[16:17], v[32:33], v[36:51]
	v_mfma_f32_32x32x16_fp8_fp8 v[36:51], v[18:19], v[34:35], v[36:51]
	s_nop 7
	s_nop 2
	scratch_store_dwordx4 off, v[36:39], off offset:1152 ; 16-byte Folded Spill
	s_nop 0
	scratch_store_dwordx4 off, v[40:43], off offset:1168 ; 16-byte Folded Spill
	scratch_store_dwordx4 off, v[44:47], off offset:1184 ; 16-byte Folded Spill
	scratch_store_dwordx4 off, v[48:51], off offset:1200 ; 16-byte Folded Spill
	scratch_load_dwordx4 v[32:35], off, off offset:1088 ; 16-byte Folded Reload
	s_nop 0
	scratch_load_dwordx4 v[36:39], off, off offset:1104 ; 16-byte Folded Reload
	scratch_load_dwordx4 v[40:43], off, off offset:1120 ; 16-byte Folded Reload
	scratch_load_dwordx4 v[44:47], off, off offset:1136 ; 16-byte Folded Reload
	s_waitcnt vmcnt(0)
	v_mfma_f32_32x32x16_fp8_fp8 v[32:47], v[16:17], v[28:29], v[32:47]
	v_mfma_f32_32x32x16_fp8_fp8 v[32:47], v[18:19], v[30:31], v[32:47]
	s_nop 7
	s_nop 2
	scratch_store_dwordx4 off, v[32:35], off offset:1088 ; 16-byte Folded Spill
	s_nop 0
	scratch_store_dwordx4 off, v[36:39], off offset:1104 ; 16-byte Folded Spill
	scratch_store_dwordx4 off, v[40:43], off offset:1120 ; 16-byte Folded Spill
	scratch_store_dwordx4 off, v[44:47], off offset:1136 ; 16-byte Folded Spill
	;; [unrolled: 15-line block ×3, first 2 shown]
	scratch_load_dwordx4 v[24:27], off, off offset:1856 ; 16-byte Folded Reload
	s_nop 0
	scratch_load_dwordx4 v[28:31], off, off offset:1872 ; 16-byte Folded Reload
	scratch_load_dwordx4 v[32:35], off, off offset:1888 ; 16-byte Folded Reload
	;; [unrolled: 1-line block ×3, first 2 shown]
	s_waitcnt vmcnt(0)
	v_mfma_f32_32x32x16_fp8_fp8 v[24:39], v[16:17], v[20:21], v[24:39]
	v_mfma_f32_32x32x16_fp8_fp8 v[24:39], v[18:19], v[22:23], v[24:39]
	s_cbranch_scc1 .LBB38_12
.LBB38_10:                              ;   Parent Loop BB38_7 Depth=1
                                        ; =>  This Inner Loop Header: Depth=2
	s_nop 7
	s_nop 1
	scratch_store_dwordx4 off, v[24:27], off offset:1856 ; 16-byte Folded Spill
	s_nop 0
	scratch_store_dwordx4 off, v[28:31], off offset:1872 ; 16-byte Folded Spill
	scratch_store_dwordx4 off, v[32:35], off offset:1888 ; 16-byte Folded Spill
	;; [unrolled: 1-line block ×3, first 2 shown]
	v_add_u32_e32 v48, s24, v106
	v_mov_b64_e32 v[16:17], 0
	v_cmp_gt_u32_e32 vcc, s4, v48
	v_mov_b64_e32 v[18:19], v[16:17]
	v_mov_b64_e32 v[36:37], v[16:17]
	;; [unrolled: 1-line block ×15, first 2 shown]
	s_and_saveexec_b64 s[20:21], vcc
	s_cbranch_execz .LBB38_9
; %bb.11:                               ;   in Loop: Header=BB38_10 Depth=2
	v_add_u32_e32 v104, s24, v107
	s_waitcnt lgkmcnt(0)
	v_lshl_add_u64 v[16:17], s[2:3], 0, v[104:105]
	v_lshl_add_u64 v[18:19], v[16:17], 0, s[8:9]
	v_lshl_add_u64 v[20:21], v[16:17], 0, s[14:15]
	v_lshl_add_u64 v[16:17], v[16:17], 0, s[16:17]
	global_load_dwordx4 v[32:35], v104, s[2:3] nt
	global_load_dwordx4 v[28:31], v[18:19], off nt
	global_load_dwordx4 v[24:27], v[20:21], off nt
	ds_read_b128 v[44:47], v48
	global_load_dwordx4 v[20:23], v[16:17], off nt
	v_add_u32_e32 v16, s24, v110
	v_add_u32_e32 v17, s24, v109
	ds_read_b128 v[40:43], v16
	ds_read_b128 v[36:39], v17
	v_add_u32_e32 v16, s24, v108
	ds_read_b128 v[16:19], v16
	s_branch .LBB38_9
.LBB38_12:                              ;   in Loop: Header=BB38_7 Depth=1
	scratch_store_dwordx4 off, v[12:15], off offset:48
	scratch_store_dwordx4 off, v[8:11], off offset:32
	;; [unrolled: 1-line block ×3, first 2 shown]
	scratch_store_dwordx4 off, v[0:3], off
	scratch_load_dwordx4 v[0:3], off, off offset:1728 ; 16-byte Folded Reload
	s_nop 0
	scratch_load_dwordx4 v[4:7], off, off offset:1744 ; 16-byte Folded Reload
	scratch_load_dwordx4 v[8:11], off, off offset:1760 ; 16-byte Folded Reload
	scratch_load_dwordx4 v[12:15], off, off offset:1776 ; 16-byte Folded Reload
	s_waitcnt vmcnt(0)
	scratch_store_dwordx4 off, v[12:15], off offset:112
	scratch_store_dwordx4 off, v[8:11], off offset:96
	scratch_store_dwordx4 off, v[4:7], off offset:80
	scratch_store_dwordx4 off, v[0:3], off offset:64
	scratch_load_dwordx4 v[0:3], off, off offset:1600 ; 16-byte Folded Reload
	s_nop 0
	scratch_load_dwordx4 v[4:7], off, off offset:1616 ; 16-byte Folded Reload
	scratch_load_dwordx4 v[8:11], off, off offset:1632 ; 16-byte Folded Reload
	scratch_load_dwordx4 v[12:15], off, off offset:1648 ; 16-byte Folded Reload
	s_waitcnt vmcnt(0)
	scratch_store_dwordx4 off, v[12:15], off offset:176
	scratch_store_dwordx4 off, v[8:11], off offset:160
	scratch_store_dwordx4 off, v[4:7], off offset:144
	scratch_store_dwordx4 off, v[0:3], off offset:128
	;; [unrolled: 10-line block ×3, first 2 shown]
	scratch_store_dwordx4 off, v[124:127], off offset:304
	scratch_store_dwordx4 off, v[120:123], off offset:288
	;; [unrolled: 1-line block ×4, first 2 shown]
	scratch_load_dwordx4 v[0:3], off, off offset:1792 ; 16-byte Folded Reload
	scratch_load_dwordx4 v[4:7], off, off offset:1808 ; 16-byte Folded Reload
	;; [unrolled: 1-line block ×4, first 2 shown]
	s_waitcnt vmcnt(0)
	scratch_store_dwordx4 off, v[12:15], off offset:368
	scratch_store_dwordx4 off, v[8:11], off offset:352
	scratch_store_dwordx4 off, v[4:7], off offset:336
	scratch_store_dwordx4 off, v[0:3], off offset:320
	scratch_load_dwordx4 v[0:3], off, off offset:1664 ; 16-byte Folded Reload
	s_nop 0
	scratch_load_dwordx4 v[4:7], off, off offset:1680 ; 16-byte Folded Reload
	scratch_load_dwordx4 v[8:11], off, off offset:1696 ; 16-byte Folded Reload
	scratch_load_dwordx4 v[12:15], off, off offset:1712 ; 16-byte Folded Reload
	s_waitcnt vmcnt(0)
	scratch_store_dwordx4 off, v[12:15], off offset:432
	scratch_store_dwordx4 off, v[8:11], off offset:416
	scratch_store_dwordx4 off, v[4:7], off offset:400
	scratch_store_dwordx4 off, v[0:3], off offset:384
	scratch_load_dwordx4 v[0:3], off, off offset:1536 ; 16-byte Folded Reload
	s_nop 0
	scratch_load_dwordx4 v[4:7], off, off offset:1552 ; 16-byte Folded Reload
	scratch_load_dwordx4 v[8:11], off, off offset:1568 ; 16-byte Folded Reload
	scratch_load_dwordx4 v[12:15], off, off offset:1584 ; 16-byte Folded Reload
	;; [unrolled: 10-line block ×9, first 2 shown]
	s_waitcnt vmcnt(0)
	scratch_store_dwordx4 off, v[12:15], off offset:944
	scratch_store_dwordx4 off, v[8:11], off offset:928
	;; [unrolled: 1-line block ×8, first 2 shown]
	scratch_load_dwordx2 v[118:119], off, off offset:1920 ; 8-byte Folded Reload
	scratch_load_dword v122, off, off offset:1944 ; 4-byte Folded Reload
.LBB38_13:                              ;   in Loop: Header=BB38_7 Depth=1
	s_waitcnt vmcnt(1)
	v_mov_b32_e32 v119, v105
	v_mov_b32_e32 v121, v107
	;; [unrolled: 1-line block ×6, first 2 shown]
	s_mov_b32 s20, 0
.LBB38_14:                              ;   Parent Loop BB38_7 Depth=1
                                        ; =>  This Inner Loop Header: Depth=2
	s_add_i32 s21, s20, 0
	scratch_load_dwordx4 v[0:3], off, s21 offset:48
	scratch_load_dwordx4 v[4:7], off, s21 offset:32
	scratch_load_dwordx4 v[8:11], off, s21
	scratch_load_dwordx4 v[12:15], off, s21 offset:16
	s_add_i32 s20, s20, 64
	s_cmpk_lg_i32 s20, 0x100
	s_waitcnt vmcnt(2)
	;;#ASMSTART
	v_add_f32 v4, v5, v4 row_shl:1 bound_ctrl:0 
	;;#ASMEND
	s_nop 0
	;;#ASMSTART
	v_add_f32 v4, v6, v4 row_shl:2 bound_ctrl:0 
	;;#ASMEND
	s_waitcnt vmcnt(1)
	;;#ASMSTART
	v_add_f32 v8, v9, v8 row_shl:1 bound_ctrl:0 
	;;#ASMEND
	;;#ASMSTART
	v_add_f32 v4, v7, v4 row_shl:3 bound_ctrl:0 
	;;#ASMEND
	s_nop 0
	;;#ASMSTART
	v_add_f32 v8, v10, v8 row_shl:2 bound_ctrl:0 
	;;#ASMEND
	;;#ASMSTART
	v_add_f32 v4, v0, v4 row_shl:8 bound_ctrl:0 
	;;#ASMEND
	s_nop 0
	;;#ASMSTART
	v_add_f32 v8, v11, v8 row_shl:3 bound_ctrl:0 
	;;#ASMEND
	;;#ASMSTART
	v_add_f32 v4, v1, v4 row_shl:9 bound_ctrl:0 
	;;#ASMEND
	s_waitcnt vmcnt(0)
	;;#ASMSTART
	v_add_f32 v8, v12, v8 row_shl:8 bound_ctrl:0 
	;;#ASMEND
	;;#ASMSTART
	v_add_f32 v4, v2, v4 row_shl:10 bound_ctrl:0 
	;;#ASMEND
	s_nop 0
	;;#ASMSTART
	v_add_f32 v8, v13, v8 row_shl:9 bound_ctrl:0 
	;;#ASMEND
	;;#ASMSTART
	v_add_f32 v4, v3, v4 row_shl:11 bound_ctrl:0 
	;;#ASMEND
	ds_bpermute_b32 v0, v122, v4 offset:208
	;;#ASMSTART
	v_add_f32 v8, v14, v8 row_shl:10 bound_ctrl:0 
	;;#ASMEND
	s_waitcnt lgkmcnt(0)
	v_add_f32_e32 v0, v4, v0
	;;#ASMSTART
	v_add_f32 v8, v15, v8 row_shl:11 bound_ctrl:0 
	;;#ASMEND
	ds_bpermute_b32 v1, v122, v8 offset:144
	ds_bpermute_b32 v0, v122, v0 offset:64
	s_waitcnt lgkmcnt(1)
	v_add_f32_e32 v1, v8, v1
	s_waitcnt lgkmcnt(0)
	v_add_f32_e32 v0, v1, v0
	scratch_store_dword off, v0, s21
	s_cbranch_scc1 .LBB38_14
; %bb.15:                               ;   in Loop: Header=BB38_7 Depth=1
	scratch_load_dwordx4 v[8:11], off, off offset:256
	scratch_load_dwordx4 v[4:7], off, off offset:288
	;; [unrolled: 1-line block ×16, first 2 shown]
	v_or_b32_e32 v114, 0xd0, v122
	scratch_load_dwordx4 v[64:67], off, off offset:560
	scratch_load_dwordx4 v[68:71], off, off offset:544
	scratch_load_dwordx4 v[72:75], off, off offset:528
	scratch_load_dwordx4 v[12:15], off, off offset:512
	scratch_load_dwordx4 v[60:63], off, off offset:624
	scratch_load_dwordx4 v[44:47], off, off offset:608
	scratch_load_dwordx4 v[48:51], off, off offset:592
	scratch_load_dwordx4 v[40:43], off, off offset:576
	scratch_load_dwordx4 v[20:23], off, off offset:688
	scratch_load_dwordx4 v[24:27], off, off offset:672
	scratch_load_dwordx4 v[28:31], off, off offset:656
	scratch_load_dwordx4 v[0:3], off, off offset:640
	v_or_b32_e32 v112, 0x90, v122
	v_or_b32_e32 v113, 64, v122
	s_waitcnt vmcnt(27)
	;;#ASMSTART
	v_add_f32 v8, v9, v8 row_shl:1 bound_ctrl:0 
	;;#ASMEND
	s_waitcnt vmcnt(26)
	;;#ASMSTART
	v_add_f32 v4, v5, v4 row_shl:1 bound_ctrl:0 
	;;#ASMEND
	;; [unrolled: 4-line block ×4, first 2 shown]
	;;#ASMSTART
	v_add_f32 v8, v10, v8 row_shl:2 bound_ctrl:0 
	;;#ASMEND
	s_waitcnt vmcnt(22)
	;;#ASMSTART
	v_add_f32 v56, v57, v56 row_shl:1 bound_ctrl:0 
	;;#ASMEND
	;;#ASMSTART
	v_add_f32 v16, v17, v16 row_shl:1 bound_ctrl:0 
	;;#ASMEND
	;; [unrolled: 3-line block ×6, first 2 shown]
	s_waitcnt vmcnt(20)
	;;#ASMSTART
	v_add_f32 v76, v77, v76 row_shl:1 bound_ctrl:0 
	;;#ASMEND
	;;#ASMSTART
	v_add_f32 v56, v58, v56 row_shl:2 bound_ctrl:0 
	;;#ASMEND
	;; [unrolled: 3-line block ×5, first 2 shown]
	s_waitcnt vmcnt(19)
	;;#ASMSTART
	v_add_f32 v8, v92, v8 row_shl:8 bound_ctrl:0 
	;;#ASMEND
	;;#ASMSTART
	v_add_f32 v76, v78, v76 row_shl:2 bound_ctrl:0 
	;;#ASMEND
	;; [unrolled: 3-line block ×3, first 2 shown]
	s_waitcnt vmcnt(18)
	;;#ASMSTART
	v_add_f32 v4, v88, v4 row_shl:8 bound_ctrl:0 
	;;#ASMEND
	s_waitcnt vmcnt(17)
	;;#ASMSTART
	v_add_f32 v32, v100, v32 row_shl:8 bound_ctrl:0 
	;;#ASMEND
	;; [unrolled: 4-line block ×3, first 2 shown]
	;;#ASMSTART
	v_add_f32 v8, v93, v8 row_shl:9 bound_ctrl:0 
	;;#ASMEND
	;;#ASMSTART
	v_add_f32 v76, v79, v76 row_shl:3 bound_ctrl:0 
	;;#ASMEND
	s_waitcnt vmcnt(14)
	;;#ASMSTART
	v_add_f32 v56, v104, v56 row_shl:8 bound_ctrl:0 
	;;#ASMEND
	;;#ASMSTART
	v_add_f32 v4, v89, v4 row_shl:9 bound_ctrl:0 
	;;#ASMEND
	;;#ASMSTART
	v_add_f32 v32, v101, v32 row_shl:9 bound_ctrl:0 
	;;#ASMEND
	;;#ASMSTART
	v_add_f32 v36, v97, v36 row_shl:9 bound_ctrl:0 
	;;#ASMEND
	;;#ASMSTART
	v_add_f32 v8, v94, v8 row_shl:10 bound_ctrl:0 
	;;#ASMEND
	s_waitcnt vmcnt(12)
	;;#ASMSTART
	v_add_f32 v76, v84, v76 row_shl:8 bound_ctrl:0 
	;;#ASMEND
	;;#ASMSTART
	v_add_f32 v56, v105, v56 row_shl:9 bound_ctrl:0 
	;;#ASMEND
	;; [unrolled: 3-line block ×6, first 2 shown]
	ds_bpermute_b32 v5, v112, v8
	;;#ASMSTART
	v_add_f32 v4, v91, v4 row_shl:11 bound_ctrl:0 
	;;#ASMEND
	ds_bpermute_b32 v6, v114, v4
	;;#ASMSTART
	v_add_f32 v36, v99, v36 row_shl:11 bound_ctrl:0 
	;;#ASMEND
	;; [unrolled: 4-line block ×3, first 2 shown]
	ds_bpermute_b32 v7, v112, v32
	s_waitcnt lgkmcnt(2)
	v_add_f32_e32 v4, v4, v6
	ds_bpermute_b32 v4, v113, v4
	s_waitcnt lgkmcnt(2)
	v_add_f32_e32 v6, v36, v9
	ds_bpermute_b32 v6, v113, v6
	;;#ASMSTART
	v_add_f32 v76, v85, v76 row_shl:9 bound_ctrl:0 
	;;#ASMEND
	v_add_f32_e32 v5, v8, v5
	;;#ASMSTART
	v_add_f32 v56, v106, v56 row_shl:10 bound_ctrl:0 
	;;#ASMEND
	s_waitcnt lgkmcnt(2)
	v_add_f32_e32 v7, v32, v7
	s_waitcnt lgkmcnt(1)
	v_add_f32_e32 v4, v5, v4
	;;#ASMSTART
	v_add_f32 v76, v86, v76 row_shl:10 bound_ctrl:0 
	;;#ASMEND
	;;#ASMSTART
	v_add_f32 v56, v107, v56 row_shl:11 bound_ctrl:0 
	;;#ASMEND
	ds_bpermute_b32 v10, v114, v56
	s_waitcnt lgkmcnt(1)
	v_add_f32_e32 v5, v7, v6
	scratch_store_dword off, v4, off offset:256
	scratch_store_dword off, v5, off offset:320
	;;#ASMSTART
	v_add_f32 v76, v87, v76 row_shl:11 bound_ctrl:0 
	;;#ASMEND
	ds_bpermute_b32 v4, v114, v76
	s_waitcnt lgkmcnt(1)
	v_add_f32_e32 v8, v56, v10
	;;#ASMSTART
	v_add_f32 v52, v53, v52 row_shl:1 bound_ctrl:0 
	;;#ASMEND
	;;#ASMSTART
	v_add_f32 v16, v18, v16 row_shl:2 bound_ctrl:0 
	;;#ASMEND
	ds_bpermute_b32 v18, v113, v8
	s_waitcnt lgkmcnt(1)
	v_add_f32_e32 v4, v76, v4
	ds_bpermute_b32 v53, v113, v4
	scratch_load_dwordx4 v[4:7], off, off offset:720
	scratch_load_dwordx4 v[8:11], off, off offset:704
	;; [unrolled: 1-line block ×4, first 2 shown]
	;;#ASMSTART
	v_add_f32 v16, v19, v16 row_shl:3 bound_ctrl:0 
	;;#ASMEND
	;;#ASMSTART
	v_add_f32 v52, v54, v52 row_shl:2 bound_ctrl:0 
	;;#ASMEND
	s_waitcnt vmcnt(16)
	;;#ASMSTART
	v_add_f32 v68, v69, v68 row_shl:1 bound_ctrl:0 
	;;#ASMEND
	s_waitcnt vmcnt(12)
	;;#ASMSTART
	v_add_f32 v44, v45, v44 row_shl:1 bound_ctrl:0 
	;;#ASMEND
	;;#ASMSTART
	v_add_f32 v12, v13, v12 row_shl:1 bound_ctrl:0 
	;;#ASMEND
	s_waitcnt vmcnt(10)
	;;#ASMSTART
	v_add_f32 v40, v41, v40 row_shl:1 bound_ctrl:0 
	;;#ASMEND
	;;#ASMSTART
	v_add_f32 v16, v108, v16 row_shl:8 bound_ctrl:0 
	;;#ASMEND
	;;#ASMSTART
	v_add_f32 v52, v55, v52 row_shl:3 bound_ctrl:0 
	;;#ASMEND
	;;#ASMSTART
	v_add_f32 v68, v70, v68 row_shl:2 bound_ctrl:0 
	;;#ASMEND
	;;#ASMSTART
	v_add_f32 v44, v46, v44 row_shl:2 bound_ctrl:0 
	;;#ASMEND
	;;#ASMSTART
	v_add_f32 v12, v14, v12 row_shl:2 bound_ctrl:0 
	;;#ASMEND
	s_nop 0
	;;#ASMSTART
	v_add_f32 v40, v42, v40 row_shl:2 bound_ctrl:0 
	;;#ASMEND
	;;#ASMSTART
	v_add_f32 v16, v109, v16 row_shl:9 bound_ctrl:0 
	;;#ASMEND
	;;#ASMSTART
	v_add_f32 v52, v80, v52 row_shl:8 bound_ctrl:0 
	;;#ASMEND
	;;#ASMSTART
	v_add_f32 v68, v71, v68 row_shl:3 bound_ctrl:0 
	;;#ASMEND
	;;#ASMSTART
	v_add_f32 v44, v47, v44 row_shl:3 bound_ctrl:0 
	;;#ASMEND
	;;#ASMSTART
	v_add_f32 v12, v15, v12 row_shl:3 bound_ctrl:0 
	;;#ASMEND
	s_nop 0
	;; [unrolled: 19-line block ×3, first 2 shown]
	;;#ASMSTART
	v_add_f32 v40, v48, v40 row_shl:8 bound_ctrl:0 
	;;#ASMEND
	;;#ASMSTART
	v_add_f32 v16, v111, v16 row_shl:11 bound_ctrl:0 
	;;#ASMEND
	ds_bpermute_b32 v17, v112, v16
	;;#ASMSTART
	v_add_f32 v52, v82, v52 row_shl:10 bound_ctrl:0 
	;;#ASMEND
	;;#ASMSTART
	v_add_f32 v68, v65, v68 row_shl:9 bound_ctrl:0 
	;;#ASMEND
	;; [unrolled: 3-line block ×4, first 2 shown]
	s_waitcnt lgkmcnt(0)
	v_add_f32_e32 v16, v16, v17
	;;#ASMSTART
	v_add_f32 v52, v83, v52 row_shl:11 bound_ctrl:0 
	;;#ASMEND
	ds_bpermute_b32 v19, v112, v52
	v_add_f32_e32 v16, v16, v18
	;;#ASMSTART
	v_add_f32 v68, v66, v68 row_shl:10 bound_ctrl:0 
	;;#ASMEND
	scratch_store_dword off, v16, off offset:384
	;;#ASMSTART
	v_add_f32 v68, v67, v68 row_shl:11 bound_ctrl:0 
	;;#ASMEND
	s_waitcnt lgkmcnt(0)
	v_add_f32_e32 v16, v52, v19
	ds_bpermute_b32 v13, v114, v68
	v_add_f32_e32 v16, v16, v53
	scratch_store_dword off, v16, off offset:448
	scratch_load_dwordx4 v[52:55], off, off offset:784
	s_nop 0
	scratch_load_dwordx4 v[14:17], off, off offset:768
	scratch_load_dwordx4 v[64:67], off, off offset:816
	;; [unrolled: 1-line block ×3, first 2 shown]
	;;#ASMSTART
	v_add_f32 v44, v62, v44 row_shl:10 bound_ctrl:0 
	;;#ASMEND
	;;#ASMSTART
	v_add_f32 v12, v74, v12 row_shl:10 bound_ctrl:0 
	;;#ASMEND
	s_waitcnt lgkmcnt(0)
	v_add_f32_e32 v13, v68, v13
	;;#ASMSTART
	v_add_f32 v44, v63, v44 row_shl:11 bound_ctrl:0 
	;;#ASMEND
	ds_bpermute_b32 v19, v114, v44
	;;#ASMSTART
	v_add_f32 v12, v75, v12 row_shl:11 bound_ctrl:0 
	;;#ASMEND
	;;#ASMSTART
	v_add_f32 v40, v49, v40 row_shl:9 bound_ctrl:0 
	;;#ASMEND
	scratch_load_dwordx4 v[46:49], off, off offset:848
	scratch_load_dwordx4 v[60:63], off, off offset:832
	;; [unrolled: 1-line block ×4, first 2 shown]
	ds_bpermute_b32 v18, v112, v12
	ds_bpermute_b32 v13, v113, v13
	;;#ASMSTART
	v_add_f32 v40, v50, v40 row_shl:10 bound_ctrl:0 
	;;#ASMEND
	s_waitcnt vmcnt(18)
	;;#ASMSTART
	v_add_f32 v24, v25, v24 row_shl:1 bound_ctrl:0 
	;;#ASMEND
	s_waitcnt lgkmcnt(2)
	v_add_f32_e32 v19, v44, v19
	;;#ASMSTART
	v_add_f32 v40, v51, v40 row_shl:11 bound_ctrl:0 
	;;#ASMEND
	ds_bpermute_b32 v41, v112, v40
	;;#ASMSTART
	v_add_f32 v24, v26, v24 row_shl:2 bound_ctrl:0 
	;;#ASMEND
	ds_bpermute_b32 v19, v113, v19
	;;#ASMSTART
	v_add_f32 v24, v27, v24 row_shl:3 bound_ctrl:0 
	;;#ASMEND
	s_waitcnt lgkmcnt(3)
	v_add_f32_e32 v12, v12, v18
	;;#ASMSTART
	v_add_f32 v24, v20, v24 row_shl:8 bound_ctrl:0 
	;;#ASMEND
	s_waitcnt lgkmcnt(2)
	v_add_f32_e32 v12, v12, v13
	;;#ASMSTART
	v_add_f32 v24, v21, v24 row_shl:9 bound_ctrl:0 
	;;#ASMEND
	scratch_store_dword off, v12, off offset:512
	;;#ASMSTART
	v_add_f32 v24, v22, v24 row_shl:10 bound_ctrl:0 
	;;#ASMEND
	s_waitcnt lgkmcnt(1)
	v_add_f32_e32 v12, v40, v41
	s_waitcnt vmcnt(17)
	;;#ASMSTART
	v_add_f32 v0, v1, v0 row_shl:1 bound_ctrl:0 
	;;#ASMEND
	;;#ASMSTART
	v_add_f32 v24, v23, v24 row_shl:11 bound_ctrl:0 
	;;#ASMEND
	ds_bpermute_b32 v1, v114, v24
	s_waitcnt lgkmcnt(1)
	v_add_f32_e32 v12, v12, v19
	scratch_store_dword off, v12, off offset:576
	;;#ASMSTART
	v_add_f32 v0, v2, v0 row_shl:2 bound_ctrl:0 
	;;#ASMEND
	scratch_load_dwordx4 v[40:43], off, off offset:912
	scratch_load_dwordx4 v[18:21], off, off offset:896
	;; [unrolled: 1-line block ×4, first 2 shown]
	;;#ASMSTART
	v_add_f32 v0, v3, v0 row_shl:3 bound_ctrl:0 
	;;#ASMEND
	s_waitcnt vmcnt(18)
	;;#ASMSTART
	v_add_f32 v8, v9, v8 row_shl:1 bound_ctrl:0 
	;;#ASMEND
	;;#ASMSTART
	v_add_f32 v0, v28, v0 row_shl:8 bound_ctrl:0 
	;;#ASMEND
	s_nop 0
	;;#ASMSTART
	v_add_f32 v8, v10, v8 row_shl:2 bound_ctrl:0 
	;;#ASMEND
	s_waitcnt lgkmcnt(0)
	v_add_f32_e32 v1, v24, v1
	;;#ASMSTART
	v_add_f32 v0, v29, v0 row_shl:9 bound_ctrl:0 
	;;#ASMEND
	;;#ASMSTART
	v_add_f32 v8, v11, v8 row_shl:3 bound_ctrl:0 
	;;#ASMEND
	scratch_load_dwordx4 v[10:13], off, off offset:976
	scratch_load_dwordx4 v[22:25], off, off offset:960
	;; [unrolled: 1-line block ×4, first 2 shown]
	s_waitcnt vmcnt(20)
	;;#ASMSTART
	v_add_f32 v32, v33, v32 row_shl:1 bound_ctrl:0 
	;;#ASMEND
	;;#ASMSTART
	v_add_f32 v0, v30, v0 row_shl:10 bound_ctrl:0 
	;;#ASMEND
	;; [unrolled: 3-line block ×3, first 2 shown]
	ds_bpermute_b32 v1, v113, v1
	;;#ASMSTART
	v_add_f32 v32, v34, v32 row_shl:2 bound_ctrl:0 
	;;#ASMEND
	;;#ASMSTART
	v_add_f32 v0, v31, v0 row_shl:11 bound_ctrl:0 
	;;#ASMEND
	ds_bpermute_b32 v2, v112, v0
	;;#ASMSTART
	v_add_f32 v32, v35, v32 row_shl:3 bound_ctrl:0 
	;;#ASMEND
	;;#ASMSTART
	v_add_f32 v8, v5, v8 row_shl:9 bound_ctrl:0 
	;;#ASMEND
	s_waitcnt vmcnt(14)
	;;#ASMSTART
	v_add_f32 v56, v57, v56 row_shl:1 bound_ctrl:0 
	;;#ASMEND
	;;#ASMSTART
	v_add_f32 v32, v36, v32 row_shl:8 bound_ctrl:0 
	;;#ASMEND
	;; [unrolled: 3-line block ×3, first 2 shown]
	s_nop 0
	;;#ASMSTART
	v_add_f32 v56, v58, v56 row_shl:2 bound_ctrl:0 
	;;#ASMEND
	s_waitcnt lgkmcnt(0)
	v_add_f32_e32 v0, v0, v2
	;;#ASMSTART
	v_add_f32 v32, v37, v32 row_shl:9 bound_ctrl:0 
	;;#ASMEND
	;;#ASMSTART
	v_add_f32 v8, v7, v8 row_shl:11 bound_ctrl:0 
	;;#ASMEND
	ds_bpermute_b32 v4, v112, v8
	;;#ASMSTART
	v_add_f32 v32, v38, v32 row_shl:10 bound_ctrl:0 
	;;#ASMEND
	;;#ASMSTART
	v_add_f32 v56, v59, v56 row_shl:3 bound_ctrl:0 
	;;#ASMEND
	s_waitcnt vmcnt(10)
	;;#ASMSTART
	v_add_f32 v68, v69, v68 row_shl:1 bound_ctrl:0 
	;;#ASMEND
	v_add_f32_e32 v0, v0, v1
	;;#ASMSTART
	v_add_f32 v32, v39, v32 row_shl:11 bound_ctrl:0 
	;;#ASMEND
	ds_bpermute_b32 v3, v114, v32
	;;#ASMSTART
	v_add_f32 v56, v64, v56 row_shl:8 bound_ctrl:0 
	;;#ASMEND
	;;#ASMSTART
	v_add_f32 v68, v70, v68 row_shl:2 bound_ctrl:0 
	;;#ASMEND
	scratch_store_dword off, v0, off offset:640
	s_waitcnt lgkmcnt(1)
	v_add_f32_e32 v0, v8, v4
	s_waitcnt lgkmcnt(0)
	v_add_f32_e32 v3, v32, v3
	ds_bpermute_b32 v3, v113, v3
	;;#ASMSTART
	v_add_f32 v56, v65, v56 row_shl:9 bound_ctrl:0 
	;;#ASMEND
	;;#ASMSTART
	v_add_f32 v68, v71, v68 row_shl:3 bound_ctrl:0 
	;;#ASMEND
	;; [unrolled: 3-line block ×4, first 2 shown]
	s_waitcnt lgkmcnt(0)
	v_add_f32_e32 v0, v0, v3
	;;#ASMSTART
	v_add_f32 v56, v66, v56 row_shl:10 bound_ctrl:0 
	;;#ASMEND
	;;#ASMSTART
	v_add_f32 v68, v72, v68 row_shl:8 bound_ctrl:0 
	;;#ASMEND
	scratch_store_dword off, v0, off offset:704
	;;#ASMSTART
	v_add_f32 v14, v16, v14 row_shl:2 bound_ctrl:0 
	;;#ASMEND
	;;#ASMSTART
	v_add_f32 v56, v67, v56 row_shl:11 bound_ctrl:0 
	;;#ASMEND
	ds_bpermute_b32 v0, v114, v56
	;;#ASMSTART
	v_add_f32 v68, v73, v68 row_shl:9 bound_ctrl:0 
	;;#ASMEND
	;;#ASMSTART
	v_add_f32 v14, v17, v14 row_shl:3 bound_ctrl:0 
	;;#ASMEND
	;; [unrolled: 3-line block ×3, first 2 shown]
	s_waitcnt vmcnt(6)
	;;#ASMSTART
	v_add_f32 v76, v77, v76 row_shl:1 bound_ctrl:0 
	;;#ASMEND
	s_waitcnt lgkmcnt(0)
	v_add_f32_e32 v0, v56, v0
	;;#ASMSTART
	v_add_f32 v68, v74, v68 row_shl:10 bound_ctrl:0 
	;;#ASMEND
	;;#ASMSTART
	v_add_f32 v14, v52, v14 row_shl:8 bound_ctrl:0 
	;;#ASMEND
	;; [unrolled: 3-line block ×3, first 2 shown]
	ds_bpermute_b32 v0, v113, v0
	;;#ASMSTART
	v_add_f32 v68, v75, v68 row_shl:11 bound_ctrl:0 
	;;#ASMEND
	ds_bpermute_b32 v2, v114, v68
	;;#ASMSTART
	v_add_f32 v14, v53, v14 row_shl:9 bound_ctrl:0 
	;;#ASMEND
	;;#ASMSTART
	v_add_f32 v60, v46, v60 row_shl:8 bound_ctrl:0 
	;;#ASMEND
	;; [unrolled: 3-line block ×3, first 2 shown]
	s_waitcnt vmcnt(2)
	;;#ASMSTART
	v_add_f32 v26, v27, v26 row_shl:1 bound_ctrl:0 
	;;#ASMEND
	s_waitcnt lgkmcnt(0)
	v_add_f32_e32 v2, v68, v2
	;;#ASMSTART
	v_add_f32 v14, v54, v14 row_shl:10 bound_ctrl:0 
	;;#ASMEND
	;;#ASMSTART
	v_add_f32 v60, v47, v60 row_shl:9 bound_ctrl:0 
	;;#ASMEND
	ds_bpermute_b32 v2, v113, v2
	;;#ASMSTART
	v_add_f32 v14, v55, v14 row_shl:11 bound_ctrl:0 
	;;#ASMEND
	ds_bpermute_b32 v1, v112, v14
	;;#ASMSTART
	v_add_f32 v60, v48, v60 row_shl:10 bound_ctrl:0 
	;;#ASMEND
	;;#ASMSTART
	v_add_f32 v76, v79, v76 row_shl:3 bound_ctrl:0 
	;;#ASMEND
	;; [unrolled: 3-line block ×4, first 2 shown]
	s_waitcnt lgkmcnt(0)
	v_add_f32_e32 v1, v14, v1
	;;#ASMSTART
	v_add_f32 v60, v49, v60 row_shl:11 bound_ctrl:0 
	;;#ASMEND
	ds_bpermute_b32 v3, v112, v60
	v_add_f32_e32 v0, v1, v0
	;;#ASMSTART
	v_add_f32 v76, v80, v76 row_shl:8 bound_ctrl:0 
	;;#ASMEND
	scratch_store_dword off, v0, off offset:768
	;;#ASMSTART
	v_add_f32 v76, v81, v76 row_shl:9 bound_ctrl:0 
	;;#ASMEND
	s_waitcnt lgkmcnt(0)
	v_add_f32_e32 v0, v60, v3
	;;#ASMSTART
	v_add_f32 v26, v29, v26 row_shl:3 bound_ctrl:0 
	;;#ASMEND
	v_add_f32_e32 v0, v0, v2
	;;#ASMSTART
	v_add_f32 v76, v82, v76 row_shl:10 bound_ctrl:0 
	;;#ASMEND
	;;#ASMSTART
	v_add_f32 v26, v84, v26 row_shl:8 bound_ctrl:0 
	;;#ASMEND
	scratch_store_dword off, v0, off offset:832
	;;#ASMSTART
	v_add_f32 v18, v20, v18 row_shl:2 bound_ctrl:0 
	;;#ASMEND
	;;#ASMSTART
	v_add_f32 v76, v83, v76 row_shl:11 bound_ctrl:0 
	;;#ASMEND
	ds_bpermute_b32 v0, v114, v76
	;;#ASMSTART
	v_add_f32 v26, v85, v26 row_shl:9 bound_ctrl:0 
	;;#ASMEND
	;;#ASMSTART
	v_add_f32 v18, v21, v18 row_shl:3 bound_ctrl:0 
	;;#ASMEND
	;; [unrolled: 3-line block ×3, first 2 shown]
	s_waitcnt lgkmcnt(0)
	v_add_f32_e32 v0, v76, v0
	;;#ASMSTART
	v_add_f32 v26, v86, v26 row_shl:10 bound_ctrl:0 
	;;#ASMEND
	;;#ASMSTART
	v_add_f32 v18, v40, v18 row_shl:8 bound_ctrl:0 
	;;#ASMEND
	;; [unrolled: 3-line block ×3, first 2 shown]
	ds_bpermute_b32 v0, v113, v0
	;;#ASMSTART
	v_add_f32 v26, v87, v26 row_shl:11 bound_ctrl:0 
	;;#ASMEND
	ds_bpermute_b32 v2, v114, v26
	;;#ASMSTART
	v_add_f32 v18, v41, v18 row_shl:9 bound_ctrl:0 
	;;#ASMEND
	;;#ASMSTART
	v_add_f32 v22, v25, v22 row_shl:3 bound_ctrl:0 
	;;#ASMEND
	s_waitcnt lgkmcnt(0)
	v_add_f32_e32 v2, v26, v2
	;;#ASMSTART
	v_add_f32 v18, v42, v18 row_shl:10 bound_ctrl:0 
	;;#ASMEND
	;;#ASMSTART
	v_add_f32 v22, v10, v22 row_shl:8 bound_ctrl:0 
	;;#ASMEND
	ds_bpermute_b32 v2, v113, v2
	;;#ASMSTART
	v_add_f32 v18, v43, v18 row_shl:11 bound_ctrl:0 
	;;#ASMEND
	ds_bpermute_b32 v1, v112, v18
	;;#ASMSTART
	v_add_f32 v22, v11, v22 row_shl:9 bound_ctrl:0 
	;;#ASMEND
	s_waitcnt lgkmcnt(0)
	v_add_f32_e32 v1, v18, v1
	;;#ASMSTART
	v_add_f32 v22, v12, v22 row_shl:10 bound_ctrl:0 
	;;#ASMEND
	v_add_f32_e32 v0, v1, v0
	;;#ASMSTART
	v_add_f32 v22, v13, v22 row_shl:11 bound_ctrl:0 
	;;#ASMEND
	ds_bpermute_b32 v3, v112, v22
	scratch_store_dword off, v0, off offset:896
	s_waitcnt lgkmcnt(0)
	v_add_f32_e32 v0, v22, v3
	v_add_f32_e32 v0, v0, v2
	scratch_store_dword off, v0, off offset:960
	s_mov_b64 s[20:21], exec
	s_and_b64 s[24:25], s[20:21], s[0:1]
	v_mov_b32_e32 v105, v119
	s_mov_b64 exec, s[24:25]
	s_cbranch_execz .LBB38_6
; %bb.16:                               ;   in Loop: Header=BB38_7 Depth=1
	scratch_load_dwordx4 v[0:3], off, off
	scratch_load_dwordx4 v[2:5], off, off offset:64
	scratch_load_dwordx4 v[4:7], off, off offset:128
	;; [unrolled: 1-line block ×15, first 2 shown]
	v_add_u32_e32 v104, s6, v118
	v_lshl_add_u64 v[48:49], v[104:105], 1, s[12:13]
	s_waitcnt vmcnt(0)
	v_add_u32_e32 v32, 1, v104
	v_add_u32_e32 v34, 2, v104
	v_add_u32_e32 v36, 3, v104
	v_add_u32_e32 v104, s6, v104
	v_mov_b32_e32 v119, v105
	v_lshl_add_u64 v[50:51], v[104:105], 1, s[12:13]
	v_add_u32_e32 v38, 2, v104
	v_add_u32_e32 v40, 3, v104
	;; [unrolled: 1-line block ×3, first 2 shown]
	v_mov_b32_e32 v33, v105
	v_mov_b32_e32 v35, v105
	v_mov_b32_e32 v37, v105
	v_mov_b32_e32 v39, v105
	v_mov_b32_e32 v41, v105
	v_mov_b32_e32 v43, v105
	v_mov_b32_e32 v45, v105
	v_lshl_add_u64 v[46:47], v[118:119], 1, s[12:13]
	v_add_u32_e32 v42, 1, v104
	v_add_u32_e32 v44, 2, v104
	v_lshl_add_u64 v[32:33], v[32:33], 1, s[12:13]
	v_lshl_add_u64 v[34:35], v[34:35], 1, s[12:13]
	v_lshl_add_u64 v[36:37], v[36:37], 1, s[12:13]
	v_lshl_add_u64 v[38:39], v[38:39], 1, s[12:13]
	v_lshl_add_u64 v[40:41], v[40:41], 1, s[12:13]
	v_lshl_add_u64 v[52:53], v[104:105], 1, s[12:13]
	v_lshl_add_u64 v[42:43], v[42:43], 1, s[12:13]
	v_add_u32_e32 v104, 3, v104
	v_mul_f32_e32 v0, s7, v0
	v_mul_f32_e32 v2, s7, v2
	;; [unrolled: 1-line block ×5, first 2 shown]
	v_fma_mixlo_f16 v0, s22, v0, 0
	v_fma_mixlo_f16 v1, s22, v1, 0
	v_mul_f32_e32 v5, s7, v10
	v_mul_f32_e32 v8, s7, v16
	;; [unrolled: 1-line block ×10, first 2 shown]
	v_fma_mixlo_f16 v8, s22, v8, 0
	v_fma_mixhi_f16 v1, s22, v3, 0
	v_fma_mixhi_f16 v0, s22, v2, 0
	v_fma_mixlo_f16 v4, s22, v4, 0
	v_fma_mixlo_f16 v5, s22, v5, 0
	;; [unrolled: 1-line block ×9, first 2 shown]
	v_fma_mixhi_f16 v8, s22, v9, 0
	global_store_dwordx2 v[46:47], v[0:1], off
	global_store_short v[48:49], v4, off
	global_store_short v[32:33], v5, off
	;; [unrolled: 1-line block ×4, first 2 shown]
	global_store_dword v[50:51], v8, off
	global_store_short v[38:39], v10, off
	global_store_short v[40:41], v11, off
	;; [unrolled: 1-line block ×4, first 2 shown]
	v_lshl_add_u64 v[0:1], v[44:45], 1, s[12:13]
	global_store_short v[0:1], v14, off
	v_mul_f32_e32 v0, s7, v30
	v_fma_mixlo_f16 v2, s22, v0, 0
	v_lshl_add_u64 v[0:1], v[104:105], 1, s[12:13]
	global_store_short v[0:1], v2, off
	s_branch .LBB38_6
.LBB38_17:
	s_endpgm
	.section	.rodata,"a",@progbits
	.p2align	6, 0x0
	.amdhsa_kernel _Z17wvSplitKQ_hf_sml_I6__halfN3c1013Float8_e4m3fnELi64ELi4ELi16ELi16ELi1ELi4EEviiiPKT0_S5_PT_PKfS9_ii
		.amdhsa_group_segment_fixed_size 65536
		.amdhsa_private_segment_fixed_size 1984
		.amdhsa_kernarg_size 64
		.amdhsa_user_sgpr_count 2
		.amdhsa_user_sgpr_dispatch_ptr 0
		.amdhsa_user_sgpr_queue_ptr 0
		.amdhsa_user_sgpr_kernarg_segment_ptr 1
		.amdhsa_user_sgpr_dispatch_id 0
		.amdhsa_user_sgpr_kernarg_preload_length 0
		.amdhsa_user_sgpr_kernarg_preload_offset 0
		.amdhsa_user_sgpr_private_segment_size 0
		.amdhsa_uses_dynamic_stack 0
		.amdhsa_enable_private_segment 1
		.amdhsa_system_sgpr_workgroup_id_x 1
		.amdhsa_system_sgpr_workgroup_id_y 0
		.amdhsa_system_sgpr_workgroup_id_z 0
		.amdhsa_system_sgpr_workgroup_info 0
		.amdhsa_system_vgpr_workitem_id 1
		.amdhsa_next_free_vgpr 128
		.amdhsa_next_free_sgpr 28
		.amdhsa_accum_offset 128
		.amdhsa_reserve_vcc 1
		.amdhsa_float_round_mode_32 0
		.amdhsa_float_round_mode_16_64 0
		.amdhsa_float_denorm_mode_32 3
		.amdhsa_float_denorm_mode_16_64 3
		.amdhsa_dx10_clamp 1
		.amdhsa_ieee_mode 1
		.amdhsa_fp16_overflow 0
		.amdhsa_tg_split 0
		.amdhsa_exception_fp_ieee_invalid_op 0
		.amdhsa_exception_fp_denorm_src 0
		.amdhsa_exception_fp_ieee_div_zero 0
		.amdhsa_exception_fp_ieee_overflow 0
		.amdhsa_exception_fp_ieee_underflow 0
		.amdhsa_exception_fp_ieee_inexact 0
		.amdhsa_exception_int_div_zero 0
	.end_amdhsa_kernel
	.section	.text._Z17wvSplitKQ_hf_sml_I6__halfN3c1013Float8_e4m3fnELi64ELi4ELi16ELi16ELi1ELi4EEviiiPKT0_S5_PT_PKfS9_ii,"axG",@progbits,_Z17wvSplitKQ_hf_sml_I6__halfN3c1013Float8_e4m3fnELi64ELi4ELi16ELi16ELi1ELi4EEviiiPKT0_S5_PT_PKfS9_ii,comdat
.Lfunc_end38:
	.size	_Z17wvSplitKQ_hf_sml_I6__halfN3c1013Float8_e4m3fnELi64ELi4ELi16ELi16ELi1ELi4EEviiiPKT0_S5_PT_PKfS9_ii, .Lfunc_end38-_Z17wvSplitKQ_hf_sml_I6__halfN3c1013Float8_e4m3fnELi64ELi4ELi16ELi16ELi1ELi4EEviiiPKT0_S5_PT_PKfS9_ii
                                        ; -- End function
	.section	.AMDGPU.csdata,"",@progbits
; Kernel info:
; codeLenInByte = 7844
; NumSgprs: 34
; NumVgprs: 128
; NumAgprs: 0
; TotalNumVgprs: 128
; ScratchSize: 1984
; MemoryBound: 0
; FloatMode: 240
; IeeeMode: 1
; LDSByteSize: 65536 bytes/workgroup (compile time only)
; SGPRBlocks: 4
; VGPRBlocks: 15
; NumSGPRsForWavesPerEU: 34
; NumVGPRsForWavesPerEU: 128
; AccumOffset: 128
; Occupancy: 4
; WaveLimiterHint : 1
; COMPUTE_PGM_RSRC2:SCRATCH_EN: 1
; COMPUTE_PGM_RSRC2:USER_SGPR: 2
; COMPUTE_PGM_RSRC2:TRAP_HANDLER: 0
; COMPUTE_PGM_RSRC2:TGID_X_EN: 1
; COMPUTE_PGM_RSRC2:TGID_Y_EN: 0
; COMPUTE_PGM_RSRC2:TGID_Z_EN: 0
; COMPUTE_PGM_RSRC2:TIDIG_COMP_CNT: 1
; COMPUTE_PGM_RSRC3_GFX90A:ACCUM_OFFSET: 31
; COMPUTE_PGM_RSRC3_GFX90A:TG_SPLIT: 0
	.section	.text._Z13wvSplitKQ_hf_I6__halfN3c1013Float8_e4m3fnELi64ELi7ELi16ELi16ELi1ELi4EEviiiPKT0_S5_PT_PKfS9_ii,"axG",@progbits,_Z13wvSplitKQ_hf_I6__halfN3c1013Float8_e4m3fnELi64ELi7ELi16ELi16ELi1ELi4EEviiiPKT0_S5_PT_PKfS9_ii,comdat
	.protected	_Z13wvSplitKQ_hf_I6__halfN3c1013Float8_e4m3fnELi64ELi7ELi16ELi16ELi1ELi4EEviiiPKT0_S5_PT_PKfS9_ii ; -- Begin function _Z13wvSplitKQ_hf_I6__halfN3c1013Float8_e4m3fnELi64ELi7ELi16ELi16ELi1ELi4EEviiiPKT0_S5_PT_PKfS9_ii
	.globl	_Z13wvSplitKQ_hf_I6__halfN3c1013Float8_e4m3fnELi64ELi7ELi16ELi16ELi1ELi4EEviiiPKT0_S5_PT_PKfS9_ii
	.p2align	8
	.type	_Z13wvSplitKQ_hf_I6__halfN3c1013Float8_e4m3fnELi64ELi7ELi16ELi16ELi1ELi4EEviiiPKT0_S5_PT_PKfS9_ii,@function
_Z13wvSplitKQ_hf_I6__halfN3c1013Float8_e4m3fnELi64ELi7ELi16ELi16ELi1ELi4EEviiiPKT0_S5_PT_PKfS9_ii: ; @_Z13wvSplitKQ_hf_I6__halfN3c1013Float8_e4m3fnELi64ELi7ELi16ELi16ELi1ELi4EEviiiPKT0_S5_PT_PKfS9_ii
; %bb.0:
	s_load_dwordx4 s[20:23], s[0:1], 0x0
	s_load_dwordx2 s[24:25], s[0:1], 0x18
	s_load_dwordx4 s[4:7], s[0:1], 0x28
	v_bfe_u32 v1, v0, 10, 10
	v_and_b32_e32 v0, 0x3ff, v0
	v_lshlrev_b32_e32 v4, 4, v0
	v_mov_b32_e32 v2, v4
	s_waitcnt lgkmcnt(0)
	s_lshl_b32 s3, s20, 2
	scratch_store_dwordx2 off, v[2:3], off offset:3704 ; 8-byte Folded Spill
	v_lshl_add_u32 v2, v1, 10, v4
	s_min_i32 s3, s3, 0x10000
	v_cmp_gt_u32_e32 vcc, s3, v2
	s_and_saveexec_b64 s[8:9], vcc
	s_cbranch_execz .LBB39_3
; %bb.1:
	s_mov_b64 s[10:11], 0
.LBB39_2:                               ; =>This Inner Loop Header: Depth=1
	global_load_dwordx4 v[4:7], v2, s[24:25]
	s_waitcnt vmcnt(0)
	ds_write_b128 v2, v[4:7]
	v_add_u32_e32 v2, 0x4000, v2
	v_cmp_le_u32_e32 vcc, s3, v2
	s_or_b64 s[10:11], vcc, s[10:11]
	s_andn2_b64 exec, exec, s[10:11]
	s_cbranch_execnz .LBB39_2
.LBB39_3:
	s_or_b64 exec, exec, s[8:9]
	s_load_dwordx2 s[8:9], s[0:1], 0x38
	s_waitcnt lgkmcnt(0)
	s_barrier
	v_cmp_gt_u32_e32 vcc, s8, v1
	s_and_saveexec_b64 s[10:11], vcc
	s_cbranch_execz .LBB39_67
; %bb.4:
	s_mul_i32 s2, s2, s8
	v_add_u32_e32 v1, s2, v1
	v_mul_lo_u32 v10, v1, 7
	v_cmp_gt_u32_e32 vcc, s22, v10
	s_and_b64 exec, exec, vcc
	s_cbranch_execz .LBB39_67
; %bb.5:
	s_load_dword s23, s[4:5], 0x0
	s_load_dword s33, s[6:7], 0x0
	s_load_dwordx2 s[26:27], s[0:1], 0x10
	s_load_dwordx2 s[28:29], s[0:1], 0x20
	scratch_load_dwordx2 v[2:3], off, off offset:3704 ; 8-byte Folded Reload
	s_mov_b32 s4, 0
	v_cmp_eq_u32_e64 s[0:1], 0, v0
	v_mul_lo_u32 v0, s21, v1
	s_mov_b32 s5, s4
	s_mov_b32 s6, s4
	;; [unrolled: 1-line block ×3, first 2 shown]
	s_mul_i32 s38, s8, s9
	s_cmp_lg_u32 s20, 0
	s_mul_i32 s38, s38, 7
	s_cselect_b64 s[30:31], -1, 0
	s_lshl_b32 s39, s22, 1
	s_mul_i32 s40, s22, 3
	s_mul_i32 s41, s38, s21
	s_ashr_i32 s35, s21, 31
	s_mov_b32 s34, s21
	s_mov_b64 s[36:37], 0
	v_mov_b32_e32 v19, 0
	s_mov_b32 s21, 0xffff
	s_waitcnt vmcnt(0)
	v_mad_u64_u32 v[0:1], s[2:3], v0, 7, v[2:3]
	scratch_store_dwordx2 off, v[0:1], off offset:3848 ; 8-byte Folded Spill
	v_mov_b64_e32 v[0:1], s[4:5]
	v_mov_b64_e32 v[2:3], s[6:7]
	scratch_store_dwordx4 off, v[0:3], off offset:3856 ; 16-byte Folded Spill
	s_nop 1
	v_mbcnt_lo_u32_b32 v0, -1, 0
	v_mbcnt_hi_u32_b32 v0, -1, v0
	v_lshlrev_b32_e32 v0, 2, v0
	v_and_b32_e32 v20, 0x100, v0
	scratch_store_dword off, v20, off offset:3872 ; 4-byte Folded Spill
	s_branch .LBB39_7
.LBB39_6:                               ;   in Loop: Header=BB39_7 Depth=1
	s_or_b64 exec, exec, s[6:7]
	scratch_load_dwordx2 v[0:1], off, off offset:3848 ; 8-byte Folded Reload
	s_waitcnt vmcnt(1)
	v_add_u32_e32 v10, s38, v10
	v_cmp_le_u32_e32 vcc, s22, v10
	s_or_b64 s[36:37], vcc, s[36:37]
	s_waitcnt vmcnt(0)
	v_add_u32_e32 v0, s41, v0
	scratch_store_dwordx2 off, v[0:1], off offset:3848 ; 8-byte Folded Spill
	s_andn2_b64 exec, exec, s[36:37]
	s_cbranch_execz .LBB39_67
.LBB39_7:                               ; =>This Loop Header: Depth=1
                                        ;     Child Loop BB39_11 Depth 2
                                        ;       Child Loop BB39_13 Depth 3
                                        ;     Child Loop BB39_31 Depth 2
                                        ;     Child Loop BB39_33 Depth 2
	;; [unrolled: 1-line block ×4, first 2 shown]
	scratch_load_dwordx4 v[0:3], off, off offset:3856 ; 16-byte Folded Reload
	s_and_b64 vcc, exec, s[30:31]
	scratch_store_dwordx2 off, v[10:11], off offset:3840 ; 8-byte Folded Spill
	s_waitcnt vmcnt(1)
	scratch_store_dwordx4 off, v[0:3], off offset:48
	scratch_store_dwordx4 off, v[0:3], off offset:32
	;; [unrolled: 1-line block ×3, first 2 shown]
	scratch_store_dwordx4 off, v[0:3], off
	scratch_store_dwordx4 off, v[0:3], off offset:496
	scratch_store_dwordx4 off, v[0:3], off offset:480
	;; [unrolled: 1-line block ×108, first 2 shown]
	s_cbranch_vccz .LBB39_30
; %bb.8:                                ;   in Loop: Header=BB39_7 Depth=1
	scratch_load_dwordx2 v[16:17], off, off offset:3848 ; 8-byte Folded Reload
	s_mov_b32 s5, s4
	s_mov_b32 s6, s4
	;; [unrolled: 1-line block ×15, first 2 shown]
	v_mov_b64_e32 v[0:1], s[4:5]
	v_mov_b64_e32 v[14:15], s[18:19]
	;; [unrolled: 1-line block ×9, first 2 shown]
	s_mov_b32 s42, 0
	v_mov_b64_e32 v[124:125], v[12:13]
	v_mov_b64_e32 v[122:123], v[10:11]
	;; [unrolled: 1-line block ×7, first 2 shown]
	scratch_store_dwordx4 off, v[0:3], off offset:3320 ; 16-byte Folded Spill
	s_nop 0
	scratch_store_dwordx4 off, v[4:7], off offset:3336 ; 16-byte Folded Spill
	scratch_store_dwordx4 off, v[8:11], off offset:3352 ; 16-byte Folded Spill
	scratch_store_dwordx4 off, v[12:15], off offset:3368 ; 16-byte Folded Spill
	scratch_store_dwordx4 off, v[0:3], off offset:3384 ; 16-byte Folded Spill
	s_nop 0
	scratch_store_dwordx4 off, v[4:7], off offset:3400 ; 16-byte Folded Spill
	scratch_store_dwordx4 off, v[8:11], off offset:3416 ; 16-byte Folded Spill
	scratch_store_dwordx4 off, v[12:15], off offset:3432 ; 16-byte Folded Spill
	scratch_store_dwordx4 off, v[0:3], off offset:3448 ; 16-byte Folded Spill
	s_nop 0
	scratch_store_dwordx4 off, v[4:7], off offset:3464 ; 16-byte Folded Spill
	scratch_store_dwordx4 off, v[8:11], off offset:3480 ; 16-byte Folded Spill
	scratch_store_dwordx4 off, v[12:15], off offset:3496 ; 16-byte Folded Spill
	scratch_store_dwordx4 off, v[0:3], off offset:3512 ; 16-byte Folded Spill
	s_nop 0
	scratch_store_dwordx4 off, v[4:7], off offset:3528 ; 16-byte Folded Spill
	scratch_store_dwordx4 off, v[8:11], off offset:3544 ; 16-byte Folded Spill
	scratch_store_dwordx4 off, v[12:15], off offset:3560 ; 16-byte Folded Spill
	scratch_store_dwordx4 off, v[0:3], off offset:3576 ; 16-byte Folded Spill
	s_nop 0
	scratch_store_dwordx4 off, v[4:7], off offset:3592 ; 16-byte Folded Spill
	scratch_store_dwordx4 off, v[8:11], off offset:3608 ; 16-byte Folded Spill
	scratch_store_dwordx4 off, v[12:15], off offset:3624 ; 16-byte Folded Spill
	scratch_store_dwordx4 off, v[0:3], off offset:2104 ; 16-byte Folded Spill
	s_nop 0
	scratch_store_dwordx4 off, v[4:7], off offset:2120 ; 16-byte Folded Spill
	scratch_store_dwordx4 off, v[8:11], off offset:2136 ; 16-byte Folded Spill
	scratch_store_dwordx4 off, v[12:15], off offset:2152 ; 16-byte Folded Spill
	scratch_store_dwordx4 off, v[0:3], off offset:1904 ; 16-byte Folded Spill
	s_nop 0
	scratch_store_dwordx4 off, v[4:7], off offset:1920 ; 16-byte Folded Spill
	scratch_store_dwordx4 off, v[8:11], off offset:1936 ; 16-byte Folded Spill
	scratch_store_dwordx4 off, v[12:15], off offset:1952 ; 16-byte Folded Spill
	scratch_store_dwordx4 off, v[0:3], off offset:2168 ; 16-byte Folded Spill
	s_nop 0
	scratch_store_dwordx4 off, v[4:7], off offset:2184 ; 16-byte Folded Spill
	scratch_store_dwordx4 off, v[8:11], off offset:2200 ; 16-byte Folded Spill
	scratch_store_dwordx4 off, v[12:15], off offset:2216 ; 16-byte Folded Spill
	scratch_store_dwordx4 off, v[0:3], off offset:2232 ; 16-byte Folded Spill
	s_nop 0
	scratch_store_dwordx4 off, v[4:7], off offset:2248 ; 16-byte Folded Spill
	scratch_store_dwordx4 off, v[8:11], off offset:2264 ; 16-byte Folded Spill
	scratch_store_dwordx4 off, v[12:15], off offset:2280 ; 16-byte Folded Spill
	scratch_store_dwordx4 off, v[0:3], off offset:2296 ; 16-byte Folded Spill
	s_nop 0
	scratch_store_dwordx4 off, v[4:7], off offset:2312 ; 16-byte Folded Spill
	scratch_store_dwordx4 off, v[8:11], off offset:2328 ; 16-byte Folded Spill
	scratch_store_dwordx4 off, v[12:15], off offset:2344 ; 16-byte Folded Spill
	scratch_store_dwordx4 off, v[0:3], off offset:2360 ; 16-byte Folded Spill
	s_nop 0
	scratch_store_dwordx4 off, v[4:7], off offset:2376 ; 16-byte Folded Spill
	scratch_store_dwordx4 off, v[8:11], off offset:2392 ; 16-byte Folded Spill
	scratch_store_dwordx4 off, v[12:15], off offset:2408 ; 16-byte Folded Spill
	scratch_store_dwordx4 off, v[0:3], off offset:1968 ; 16-byte Folded Spill
	s_nop 0
	scratch_store_dwordx4 off, v[4:7], off offset:1984 ; 16-byte Folded Spill
	scratch_store_dwordx4 off, v[8:11], off offset:2000 ; 16-byte Folded Spill
	scratch_store_dwordx4 off, v[12:15], off offset:2016 ; 16-byte Folded Spill
	scratch_store_dwordx4 off, v[0:3], off offset:2424 ; 16-byte Folded Spill
	s_nop 0
	scratch_store_dwordx4 off, v[4:7], off offset:2440 ; 16-byte Folded Spill
	scratch_store_dwordx4 off, v[8:11], off offset:2456 ; 16-byte Folded Spill
	scratch_store_dwordx4 off, v[12:15], off offset:2472 ; 16-byte Folded Spill
	scratch_store_dwordx4 off, v[0:3], off offset:2488 ; 16-byte Folded Spill
	s_nop 0
	scratch_store_dwordx4 off, v[4:7], off offset:2504 ; 16-byte Folded Spill
	scratch_store_dwordx4 off, v[8:11], off offset:2520 ; 16-byte Folded Spill
	scratch_store_dwordx4 off, v[12:15], off offset:2536 ; 16-byte Folded Spill
	scratch_store_dwordx4 off, v[0:3], off offset:2552 ; 16-byte Folded Spill
	s_nop 0
	scratch_store_dwordx4 off, v[4:7], off offset:2568 ; 16-byte Folded Spill
	scratch_store_dwordx4 off, v[8:11], off offset:2584 ; 16-byte Folded Spill
	scratch_store_dwordx4 off, v[12:15], off offset:2600 ; 16-byte Folded Spill
	scratch_store_dwordx4 off, v[0:3], off offset:2616 ; 16-byte Folded Spill
	s_nop 0
	scratch_store_dwordx4 off, v[4:7], off offset:2632 ; 16-byte Folded Spill
	scratch_store_dwordx4 off, v[8:11], off offset:2648 ; 16-byte Folded Spill
	scratch_store_dwordx4 off, v[12:15], off offset:2664 ; 16-byte Folded Spill
	scratch_store_dwordx4 off, v[0:3], off offset:2680 ; 16-byte Folded Spill
	s_nop 0
	scratch_store_dwordx4 off, v[4:7], off offset:2696 ; 16-byte Folded Spill
	scratch_store_dwordx4 off, v[8:11], off offset:2712 ; 16-byte Folded Spill
	scratch_store_dwordx4 off, v[12:15], off offset:2728 ; 16-byte Folded Spill
	scratch_store_dwordx4 off, v[0:3], off offset:2744 ; 16-byte Folded Spill
	s_nop 0
	scratch_store_dwordx4 off, v[4:7], off offset:2760 ; 16-byte Folded Spill
	scratch_store_dwordx4 off, v[8:11], off offset:2776 ; 16-byte Folded Spill
	scratch_store_dwordx4 off, v[12:15], off offset:2792 ; 16-byte Folded Spill
	scratch_store_dwordx4 off, v[0:3], off offset:2808 ; 16-byte Folded Spill
	s_nop 0
	scratch_store_dwordx4 off, v[4:7], off offset:2824 ; 16-byte Folded Spill
	scratch_store_dwordx4 off, v[8:11], off offset:2840 ; 16-byte Folded Spill
	scratch_store_dwordx4 off, v[12:15], off offset:2856 ; 16-byte Folded Spill
	scratch_store_dwordx4 off, v[0:3], off offset:2872 ; 16-byte Folded Spill
	s_nop 0
	scratch_store_dwordx4 off, v[4:7], off offset:2888 ; 16-byte Folded Spill
	scratch_store_dwordx4 off, v[8:11], off offset:2904 ; 16-byte Folded Spill
	scratch_store_dwordx4 off, v[12:15], off offset:2920 ; 16-byte Folded Spill
	scratch_store_dwordx4 off, v[0:3], off offset:2032 ; 16-byte Folded Spill
	s_nop 0
	scratch_store_dwordx4 off, v[4:7], off offset:2048 ; 16-byte Folded Spill
	scratch_store_dwordx4 off, v[8:11], off offset:2064 ; 16-byte Folded Spill
	scratch_store_dwordx4 off, v[12:15], off offset:2080 ; 16-byte Folded Spill
	scratch_store_dwordx4 off, v[0:3], off offset:2936 ; 16-byte Folded Spill
	s_nop 0
	scratch_store_dwordx4 off, v[4:7], off offset:2952 ; 16-byte Folded Spill
	scratch_store_dwordx4 off, v[8:11], off offset:2968 ; 16-byte Folded Spill
	scratch_store_dwordx4 off, v[12:15], off offset:2984 ; 16-byte Folded Spill
	scratch_store_dwordx4 off, v[0:3], off offset:3000 ; 16-byte Folded Spill
	s_nop 0
	scratch_store_dwordx4 off, v[4:7], off offset:3016 ; 16-byte Folded Spill
	scratch_store_dwordx4 off, v[8:11], off offset:3032 ; 16-byte Folded Spill
	scratch_store_dwordx4 off, v[12:15], off offset:3048 ; 16-byte Folded Spill
	scratch_store_dwordx4 off, v[0:3], off offset:3064 ; 16-byte Folded Spill
	s_nop 0
	scratch_store_dwordx4 off, v[4:7], off offset:3080 ; 16-byte Folded Spill
	scratch_store_dwordx4 off, v[8:11], off offset:3096 ; 16-byte Folded Spill
	scratch_store_dwordx4 off, v[12:15], off offset:3112 ; 16-byte Folded Spill
	scratch_store_dwordx4 off, v[0:3], off offset:3128 ; 16-byte Folded Spill
	s_nop 0
	scratch_store_dwordx4 off, v[4:7], off offset:3144 ; 16-byte Folded Spill
	scratch_store_dwordx4 off, v[8:11], off offset:3160 ; 16-byte Folded Spill
	scratch_store_dwordx4 off, v[12:15], off offset:3176 ; 16-byte Folded Spill
	scratch_store_dwordx4 off, v[0:3], off offset:3640 ; 16-byte Folded Spill
	s_nop 0
	scratch_store_dwordx4 off, v[4:7], off offset:3656 ; 16-byte Folded Spill
	scratch_store_dwordx4 off, v[8:11], off offset:3672 ; 16-byte Folded Spill
	scratch_store_dwordx4 off, v[12:15], off offset:3688 ; 16-byte Folded Spill
	scratch_store_dwordx4 off, v[0:3], off offset:3192 ; 16-byte Folded Spill
	s_nop 0
	scratch_store_dwordx4 off, v[4:7], off offset:3208 ; 16-byte Folded Spill
	scratch_store_dwordx4 off, v[8:11], off offset:3224 ; 16-byte Folded Spill
	scratch_store_dwordx4 off, v[12:15], off offset:3240 ; 16-byte Folded Spill
	s_waitcnt vmcnt(62)
	v_mov_b32_e32 v18, v16
	s_branch .LBB39_11
.LBB39_9:                               ;   in Loop: Header=BB39_11 Depth=2
	s_or_b64 exec, exec, s[6:7]
	scratch_load_dwordx4 v[120:123], off, off offset:1792
	scratch_load_dwordx4 v[16:19], off, off offset:1808
	s_waitcnt vmcnt(0)
	scratch_store_dwordx4 off, v[16:19], off offset:3824 ; 16-byte Folded Spill
	scratch_load_dwordx4 v[0:3], off, off offset:2744 ; 16-byte Folded Reload
	scratch_load_dwordx4 v[4:7], off, off offset:2760 ; 16-byte Folded Reload
	;; [unrolled: 1-line block ×8, first 2 shown]
	s_waitcnt vmcnt(0) lgkmcnt(0)
	v_mfma_f32_32x32x16_fp8_fp8 v[52:67], v[48:49], v[16:17], v[52:67]
	s_nop 7
	s_nop 2
	v_mov_b64_e32 v[70:71], v[66:67]
	v_mov_b64_e32 v[68:69], v[64:65]
	;; [unrolled: 1-line block ×8, first 2 shown]
	scratch_load_dwordx4 v[52:55], off, off offset:1824
	scratch_load_dwordx4 v[20:23], off, off offset:1840
	v_mfma_f32_32x32x16_fp8_fp8 v[0:15], v[48:49], v[120:121], v[0:15]
	s_waitcnt vmcnt(0)
	scratch_store_dwordx4 off, v[20:23], off offset:3808 ; 16-byte Folded Spill
	scratch_load_dwordx4 v[72:75], off, off offset:2616 ; 16-byte Folded Reload
	scratch_load_dwordx4 v[76:79], off, off offset:2632 ; 16-byte Folded Reload
	;; [unrolled: 1-line block ×8, first 2 shown]
	scratch_load_dwordx4 v[16:19], off, off offset:1856
	scratch_load_dwordx4 v[32:35], off, off offset:1872
	v_mfma_f32_32x32x16_fp8_fp8 v[0:15], v[50:51], v[122:123], v[0:15]
	s_waitcnt vmcnt(1)
	scratch_store_dwordx4 off, v[16:19], off offset:3792 ; 16-byte Folded Spill
	s_waitcnt vmcnt(1)
	scratch_store_dwordx4 off, v[32:35], off offset:3304 ; 16-byte Folded Spill
	scratch_load_dwordx4 v[104:107], off, off offset:2488 ; 16-byte Folded Reload
	scratch_load_dwordx4 v[108:111], off, off offset:2504 ; 16-byte Folded Reload
	;; [unrolled: 1-line block ×4, first 2 shown]
	v_mfma_f32_32x32x16_fp8_fp8 v[88:103], v[48:49], v[20:21], v[88:103]
	v_mfma_f32_32x32x16_fp8_fp8 v[72:87], v[48:49], v[52:53], v[72:87]
	;; [unrolled: 1-line block ×3, first 2 shown]
	s_waitcnt vmcnt(0)
	v_mfma_f32_32x32x16_fp8_fp8 v[104:119], v[48:49], v[16:17], v[104:119]
	scratch_load_dwordx4 v[16:19], off, off offset:2424 ; 16-byte Folded Reload
	scratch_load_dwordx4 v[20:23], off, off offset:2440 ; 16-byte Folded Reload
	;; [unrolled: 1-line block ×4, first 2 shown]
	s_waitcnt vmcnt(0)
	v_mfma_f32_32x32x16_fp8_fp8 v[16:31], v[48:49], v[32:33], v[16:31]
	scratch_load_dwordx4 v[124:127], off, off offset:1888
	scratch_load_dwordx4 v[32:35], off, off offset:1968 ; 16-byte Folded Reload
	scratch_load_dwordx4 v[36:39], off, off offset:1984 ; 16-byte Folded Reload
	;; [unrolled: 1-line block ×4, first 2 shown]
	s_waitcnt vmcnt(0)
	v_mfma_f32_32x32x16_fp8_fp8 v[32:47], v[48:49], v[124:125], v[32:47]
	s_nop 7
	s_nop 2
	scratch_store_dwordx4 off, v[32:35], off offset:1968 ; 16-byte Folded Spill
	s_nop 0
	scratch_store_dwordx4 off, v[36:39], off offset:1984 ; 16-byte Folded Spill
	scratch_store_dwordx4 off, v[40:43], off offset:2000 ; 16-byte Folded Spill
	;; [unrolled: 1-line block ×4, first 2 shown]
	s_nop 0
	scratch_store_dwordx4 off, v[4:7], off offset:2760 ; 16-byte Folded Spill
	scratch_store_dwordx4 off, v[8:11], off offset:2776 ; 16-byte Folded Spill
	;; [unrolled: 1-line block ×3, first 2 shown]
	scratch_load_dwordx4 v[40:43], off, off offset:3824 ; 16-byte Folded Reload
	s_waitcnt vmcnt(0)
	v_mfma_f32_32x32x16_fp8_fp8 v[56:71], v[50:51], v[42:43], v[56:71]
	s_nop 7
	s_nop 2
	scratch_store_dwordx4 off, v[56:59], off offset:2680 ; 16-byte Folded Spill
	s_nop 0
	scratch_store_dwordx4 off, v[60:63], off offset:2696 ; 16-byte Folded Spill
	scratch_store_dwordx4 off, v[64:67], off offset:2712 ; 16-byte Folded Spill
	;; [unrolled: 1-line block ×4, first 2 shown]
	s_nop 0
	scratch_store_dwordx4 off, v[76:79], off offset:2632 ; 16-byte Folded Spill
	scratch_store_dwordx4 off, v[80:83], off offset:2648 ; 16-byte Folded Spill
	;; [unrolled: 1-line block ×3, first 2 shown]
	scratch_load_dwordx4 v[60:63], off, off offset:3808 ; 16-byte Folded Reload
	v_mov_b64_e32 v[32:33], v[40:41]
	v_mov_b64_e32 v[34:35], v[42:43]
	s_waitcnt vmcnt(0)
	v_mfma_f32_32x32x16_fp8_fp8 v[88:103], v[50:51], v[62:63], v[88:103]
	s_nop 7
	s_nop 2
	scratch_store_dwordx4 off, v[88:91], off offset:2552 ; 16-byte Folded Spill
	s_nop 0
	scratch_store_dwordx4 off, v[92:95], off offset:2568 ; 16-byte Folded Spill
	scratch_store_dwordx4 off, v[96:99], off offset:2584 ; 16-byte Folded Spill
	;; [unrolled: 1-line block ×3, first 2 shown]
	scratch_load_dwordx4 v[36:39], off, off offset:3792 ; 16-byte Folded Reload
	v_mov_b64_e32 v[40:41], v[60:61]
	v_mov_b64_e32 v[42:43], v[62:63]
	s_waitcnt vmcnt(0)
	v_mfma_f32_32x32x16_fp8_fp8 v[104:119], v[50:51], v[38:39], v[104:119]
	s_nop 7
	s_nop 2
	scratch_store_dwordx4 off, v[104:107], off offset:2488 ; 16-byte Folded Spill
	s_nop 0
	scratch_store_dwordx4 off, v[108:111], off offset:2504 ; 16-byte Folded Spill
	scratch_store_dwordx4 off, v[112:115], off offset:2520 ; 16-byte Folded Spill
	;; [unrolled: 1-line block ×3, first 2 shown]
	scratch_load_dwordx4 v[44:47], off, off offset:3304 ; 16-byte Folded Reload
	s_waitcnt vmcnt(0)
	v_mfma_f32_32x32x16_fp8_fp8 v[16:31], v[50:51], v[46:47], v[16:31]
	s_nop 7
	s_nop 2
	scratch_store_dwordx4 off, v[16:19], off offset:2424 ; 16-byte Folded Spill
	s_nop 0
	scratch_store_dwordx4 off, v[20:23], off offset:2440 ; 16-byte Folded Spill
	scratch_store_dwordx4 off, v[24:27], off offset:2456 ; 16-byte Folded Spill
	;; [unrolled: 1-line block ×3, first 2 shown]
	scratch_load_dwordx4 v[0:3], off, off offset:1968 ; 16-byte Folded Reload
	scratch_load_dwordx4 v[4:7], off, off offset:1984 ; 16-byte Folded Reload
	;; [unrolled: 1-line block ×4, first 2 shown]
	s_waitcnt vmcnt(0)
	v_mfma_f32_32x32x16_fp8_fp8 v[0:15], v[50:51], v[126:127], v[0:15]
	s_nop 7
	s_nop 2
	scratch_store_dwordx4 off, v[0:3], off offset:1968 ; 16-byte Folded Spill
	s_nop 0
	scratch_store_dwordx4 off, v[4:7], off offset:1984 ; 16-byte Folded Spill
	scratch_store_dwordx4 off, v[8:11], off offset:2000 ; 16-byte Folded Spill
	;; [unrolled: 1-line block ×3, first 2 shown]
	v_mov_b64_e32 v[48:49], v[120:121]
	scratch_load_dwordx4 v[16:19], off, off offset:3192 ; 16-byte Folded Reload
	scratch_load_dwordx4 v[20:23], off, off offset:3208 ; 16-byte Folded Reload
	;; [unrolled: 1-line block ×4, first 2 shown]
	v_mov_b64_e32 v[50:51], v[122:123]
	scratch_load_dwordx4 v[120:123], off, off offset:3288 ; 16-byte Folded Reload
	s_waitcnt vmcnt(0)
	v_mfma_f32_32x32x16_fp8_fp8 v[16:31], v[120:121], v[48:49], v[16:31]
	scratch_store_dwordx4 off, v[48:51], off offset:3776 ; 16-byte Folded Spill
	scratch_load_dwordx4 v[0:3], off, off offset:3128 ; 16-byte Folded Reload
	scratch_load_dwordx4 v[4:7], off, off offset:3144 ; 16-byte Folded Reload
	scratch_load_dwordx4 v[8:11], off, off offset:3160 ; 16-byte Folded Reload
	scratch_load_dwordx4 v[12:15], off, off offset:3176 ; 16-byte Folded Reload
	s_waitcnt vmcnt(0)
	v_mfma_f32_32x32x16_fp8_fp8 v[0:15], v[120:121], v[32:33], v[0:15]
	s_nop 7
	s_nop 2
	v_mov_b64_e32 v[118:119], v[14:15]
	v_mov_b64_e32 v[116:117], v[12:13]
	v_mov_b64_e32 v[114:115], v[10:11]
	v_mov_b64_e32 v[112:113], v[8:9]
	v_mov_b64_e32 v[110:111], v[6:7]
	v_mov_b64_e32 v[108:109], v[4:5]
	v_mov_b64_e32 v[106:107], v[2:3]
	v_mov_b64_e32 v[104:105], v[0:1]
	scratch_load_dwordx4 v[0:3], off, off offset:3064 ; 16-byte Folded Reload
	scratch_load_dwordx4 v[4:7], off, off offset:3080 ; 16-byte Folded Reload
	scratch_load_dwordx4 v[8:11], off, off offset:3096 ; 16-byte Folded Reload
	scratch_load_dwordx4 v[12:15], off, off offset:3112 ; 16-byte Folded Reload
	s_waitcnt vmcnt(0)
	v_mfma_f32_32x32x16_fp8_fp8 v[0:15], v[120:121], v[52:53], v[0:15]
	s_nop 7
	s_nop 2
	v_mov_b64_e32 v[102:103], v[14:15]
	v_mov_b64_e32 v[100:101], v[12:13]
	v_mov_b64_e32 v[98:99], v[10:11]
	v_mov_b64_e32 v[96:97], v[8:9]
	v_mov_b64_e32 v[94:95], v[6:7]
	v_mov_b64_e32 v[92:93], v[4:5]
	v_mov_b64_e32 v[90:91], v[2:3]
	v_mov_b64_e32 v[88:89], v[0:1]
	;; [unrolled: 16-line block ×4, first 2 shown]
	scratch_load_dwordx4 v[0:3], off, off offset:2032 ; 16-byte Folded Reload
	scratch_load_dwordx4 v[4:7], off, off offset:2048 ; 16-byte Folded Reload
	scratch_load_dwordx4 v[8:11], off, off offset:2064 ; 16-byte Folded Reload
	scratch_load_dwordx4 v[12:15], off, off offset:2080 ; 16-byte Folded Reload
	s_waitcnt vmcnt(0)
	v_mfma_f32_32x32x16_fp8_fp8 v[0:15], v[120:121], v[44:45], v[0:15]
	s_nop 7
	s_nop 2
	scratch_store_dwordx4 off, v[0:3], off offset:2032 ; 16-byte Folded Spill
	s_nop 0
	scratch_store_dwordx4 off, v[4:7], off offset:2048 ; 16-byte Folded Spill
	scratch_store_dwordx4 off, v[8:11], off offset:2064 ; 16-byte Folded Spill
	;; [unrolled: 1-line block ×3, first 2 shown]
	v_mfma_f32_32x32x16_fp8_fp8 v[16:31], v[122:123], v[50:51], v[16:31]
	v_mov_b64_e32 v[50:51], v[38:39]
	scratch_load_dwordx4 v[0:3], off, off offset:2872 ; 16-byte Folded Reload
	scratch_load_dwordx4 v[4:7], off, off offset:2888 ; 16-byte Folded Reload
	scratch_load_dwordx4 v[8:11], off, off offset:2904 ; 16-byte Folded Reload
	scratch_load_dwordx4 v[12:15], off, off offset:2920 ; 16-byte Folded Reload
	s_nop 5
	scratch_store_dwordx4 off, v[16:19], off offset:3192 ; 16-byte Folded Spill
	s_nop 0
	scratch_store_dwordx4 off, v[20:23], off offset:3208 ; 16-byte Folded Spill
	scratch_store_dwordx4 off, v[24:27], off offset:3224 ; 16-byte Folded Spill
	;; [unrolled: 1-line block ×3, first 2 shown]
	v_mfma_f32_32x32x16_fp8_fp8 v[104:119], v[122:123], v[34:35], v[104:119]
	s_nop 7
	s_nop 2
	scratch_store_dwordx4 off, v[104:107], off offset:3128 ; 16-byte Folded Spill
	s_nop 0
	scratch_store_dwordx4 off, v[108:111], off offset:3144 ; 16-byte Folded Spill
	scratch_store_dwordx4 off, v[112:115], off offset:3160 ; 16-byte Folded Spill
	;; [unrolled: 1-line block ×3, first 2 shown]
	v_mfma_f32_32x32x16_fp8_fp8 v[88:103], v[122:123], v[54:55], v[88:103]
	s_nop 7
	s_nop 2
	scratch_store_dwordx4 off, v[88:91], off offset:3064 ; 16-byte Folded Spill
	s_nop 0
	scratch_store_dwordx4 off, v[92:95], off offset:3080 ; 16-byte Folded Spill
	scratch_store_dwordx4 off, v[96:99], off offset:3096 ; 16-byte Folded Spill
	;; [unrolled: 1-line block ×3, first 2 shown]
	v_mfma_f32_32x32x16_fp8_fp8 v[72:87], v[122:123], v[42:43], v[72:87]
	v_mov_b64_e32 v[16:17], v[32:33]
	v_mov_b64_e32 v[90:91], v[42:43]
	s_nop 7
	s_nop 0
	scratch_store_dwordx4 off, v[72:75], off offset:3000 ; 16-byte Folded Spill
	s_nop 0
	scratch_store_dwordx4 off, v[76:79], off offset:3016 ; 16-byte Folded Spill
	scratch_store_dwordx4 off, v[80:83], off offset:3032 ; 16-byte Folded Spill
	;; [unrolled: 1-line block ×3, first 2 shown]
	v_mfma_f32_32x32x16_fp8_fp8 v[56:71], v[122:123], v[50:51], v[56:71]
	s_nop 7
	s_nop 2
	scratch_store_dwordx4 off, v[56:59], off offset:2936 ; 16-byte Folded Spill
	s_nop 0
	scratch_store_dwordx4 off, v[60:63], off offset:2952 ; 16-byte Folded Spill
	scratch_store_dwordx4 off, v[64:67], off offset:2968 ; 16-byte Folded Spill
	;; [unrolled: 1-line block ×3, first 2 shown]
	v_mov_b64_e32 v[18:19], v[34:35]
	v_mov_b64_e32 v[88:89], v[40:41]
	;; [unrolled: 1-line block ×3, first 2 shown]
	scratch_load_dwordx4 v[28:31], off, off offset:2032 ; 16-byte Folded Reload
	scratch_load_dwordx4 v[32:35], off, off offset:2048 ; 16-byte Folded Reload
	;; [unrolled: 1-line block ×4, first 2 shown]
	s_waitcnt vmcnt(24)
	v_mfma_f32_32x32x16_fp8_fp8 v[0:15], v[120:121], v[124:125], v[0:15]
	v_mov_b64_e32 v[72:73], v[88:89]
	v_mov_b64_e32 v[74:75], v[90:91]
	s_waitcnt vmcnt(0)
	v_mfma_f32_32x32x16_fp8_fp8 v[28:43], v[122:123], v[46:47], v[28:43]
	s_nop 7
	s_nop 2
	scratch_store_dwordx4 off, v[28:31], off offset:2032 ; 16-byte Folded Spill
	s_nop 0
	scratch_store_dwordx4 off, v[32:35], off offset:2048 ; 16-byte Folded Spill
	scratch_store_dwordx4 off, v[36:39], off offset:2064 ; 16-byte Folded Spill
	;; [unrolled: 1-line block ×3, first 2 shown]
	v_mfma_f32_32x32x16_fp8_fp8 v[0:15], v[122:123], v[126:127], v[0:15]
	s_nop 7
	s_nop 2
	scratch_store_dwordx4 off, v[0:3], off offset:2872 ; 16-byte Folded Spill
	s_nop 0
	scratch_store_dwordx4 off, v[4:7], off offset:2888 ; 16-byte Folded Spill
	scratch_store_dwordx4 off, v[8:11], off offset:2904 ; 16-byte Folded Spill
	;; [unrolled: 1-line block ×3, first 2 shown]
	v_mov_b64_e32 v[42:43], v[18:19]
	scratch_load_dwordx4 v[20:23], off, off offset:2808 ; 16-byte Folded Reload
	scratch_load_dwordx4 v[24:27], off, off offset:2824 ; 16-byte Folded Reload
	;; [unrolled: 1-line block ×10, first 2 shown]
	v_mov_b64_e32 v[40:41], v[16:17]
	scratch_load_dwordx4 v[4:7], off, off offset:2296 ; 16-byte Folded Reload
	scratch_load_dwordx4 v[8:11], off, off offset:2312 ; 16-byte Folded Reload
	scratch_load_dwordx4 v[12:15], off, off offset:2328 ; 16-byte Folded Reload
	scratch_load_dwordx4 v[16:19], off, off offset:2344 ; 16-byte Folded Reload
	s_waitcnt vmcnt(0)
	v_mfma_f32_32x32x16_fp8_fp8 v[4:19], v[0:1], v[52:53], v[4:19]
	s_nop 7
	s_nop 2
	v_mov_b64_e32 v[122:123], v[18:19]
	v_mov_b64_e32 v[120:121], v[16:17]
	v_mov_b64_e32 v[118:119], v[14:15]
	v_mov_b64_e32 v[116:117], v[12:13]
	v_mov_b64_e32 v[114:115], v[10:11]
	v_mov_b64_e32 v[112:113], v[8:9]
	v_mov_b64_e32 v[110:111], v[6:7]
	v_mov_b64_e32 v[108:109], v[4:5]
	scratch_load_dwordx4 v[4:7], off, off offset:2232 ; 16-byte Folded Reload
	scratch_load_dwordx4 v[8:11], off, off offset:2248 ; 16-byte Folded Reload
	scratch_load_dwordx4 v[12:15], off, off offset:2264 ; 16-byte Folded Reload
	scratch_load_dwordx4 v[16:19], off, off offset:2280 ; 16-byte Folded Reload
	s_waitcnt vmcnt(0)
	v_mfma_f32_32x32x16_fp8_fp8 v[4:19], v[0:1], v[72:73], v[4:19]
	s_nop 7
	s_nop 2
	v_mov_b64_e32 v[106:107], v[18:19]
	v_mov_b64_e32 v[104:105], v[16:17]
	v_mov_b64_e32 v[102:103], v[14:15]
	v_mov_b64_e32 v[100:101], v[12:13]
	v_mov_b64_e32 v[98:99], v[10:11]
	v_mov_b64_e32 v[96:97], v[8:9]
	v_mov_b64_e32 v[94:95], v[6:7]
	;; [unrolled: 16-line block ×3, first 2 shown]
	v_mov_b64_e32 v[76:77], v[4:5]
	scratch_load_dwordx4 v[4:7], off, off offset:1904 ; 16-byte Folded Reload
	scratch_load_dwordx4 v[8:11], off, off offset:1920 ; 16-byte Folded Reload
	scratch_load_dwordx4 v[12:15], off, off offset:1936 ; 16-byte Folded Reload
	scratch_load_dwordx4 v[16:19], off, off offset:1952 ; 16-byte Folded Reload
	v_mfma_f32_32x32x16_fp8_fp8 v[20:35], v[0:1], v[36:37], v[20:35]
	v_mfma_f32_32x32x16_fp8_fp8 v[56:71], v[0:1], v[40:41], v[56:71]
	s_waitcnt vmcnt(0)
	v_mfma_f32_32x32x16_fp8_fp8 v[4:19], v[0:1], v[44:45], v[4:19]
	s_nop 7
	s_nop 2
	scratch_store_dwordx4 off, v[4:7], off offset:1904 ; 16-byte Folded Spill
	s_nop 0
	scratch_store_dwordx4 off, v[8:11], off offset:1920 ; 16-byte Folded Spill
	scratch_store_dwordx4 off, v[12:15], off offset:1936 ; 16-byte Folded Spill
	;; [unrolled: 1-line block ×3, first 2 shown]
	v_mfma_f32_32x32x16_fp8_fp8 v[20:35], v[2:3], v[38:39], v[20:35]
	scratch_load_dwordx4 v[4:7], off, off offset:2104 ; 16-byte Folded Reload
	scratch_load_dwordx4 v[8:11], off, off offset:2120 ; 16-byte Folded Reload
	;; [unrolled: 1-line block ×4, first 2 shown]
	s_nop 6
	scratch_store_dwordx4 off, v[20:23], off offset:2808 ; 16-byte Folded Spill
	s_nop 0
	scratch_store_dwordx4 off, v[24:27], off offset:2824 ; 16-byte Folded Spill
	scratch_store_dwordx4 off, v[28:31], off offset:2840 ; 16-byte Folded Spill
	scratch_store_dwordx4 off, v[32:35], off offset:2856 ; 16-byte Folded Spill
	v_mfma_f32_32x32x16_fp8_fp8 v[56:71], v[2:3], v[42:43], v[56:71]
	s_nop 7
	s_nop 2
	scratch_store_dwordx4 off, v[56:59], off offset:2360 ; 16-byte Folded Spill
	s_nop 0
	scratch_store_dwordx4 off, v[60:63], off offset:2376 ; 16-byte Folded Spill
	scratch_store_dwordx4 off, v[64:67], off offset:2392 ; 16-byte Folded Spill
	scratch_store_dwordx4 off, v[68:71], off offset:2408 ; 16-byte Folded Spill
	v_mfma_f32_32x32x16_fp8_fp8 v[108:123], v[2:3], v[54:55], v[108:123]
	v_mov_b64_e32 v[32:33], v[40:41]
	s_nop 7
	s_nop 1
	scratch_store_dwordx4 off, v[108:111], off offset:2296 ; 16-byte Folded Spill
	s_nop 0
	scratch_store_dwordx4 off, v[112:115], off offset:2312 ; 16-byte Folded Spill
	scratch_store_dwordx4 off, v[116:119], off offset:2328 ; 16-byte Folded Spill
	scratch_store_dwordx4 off, v[120:123], off offset:2344 ; 16-byte Folded Spill
	v_mfma_f32_32x32x16_fp8_fp8 v[92:107], v[2:3], v[74:75], v[92:107]
	v_mov_b64_e32 v[28:29], v[52:53]
	;; [unrolled: 9-line block ×3, first 2 shown]
	s_nop 7
	s_nop 1
	scratch_store_dwordx4 off, v[76:79], off offset:2168 ; 16-byte Folded Spill
	s_nop 0
	scratch_store_dwordx4 off, v[80:83], off offset:2184 ; 16-byte Folded Spill
	scratch_store_dwordx4 off, v[84:87], off offset:2200 ; 16-byte Folded Spill
	;; [unrolled: 1-line block ×3, first 2 shown]
	v_mov_b64_e32 v[34:35], v[42:43]
	v_mov_b64_e32 v[30:31], v[54:55]
	;; [unrolled: 1-line block ×3, first 2 shown]
	scratch_load_dwordx4 v[40:43], off, off offset:1904 ; 16-byte Folded Reload
	scratch_load_dwordx4 v[44:47], off, off offset:1920 ; 16-byte Folded Reload
	;; [unrolled: 1-line block ×5, first 2 shown]
	s_waitcnt vmcnt(25)
	v_mfma_f32_32x32x16_fp8_fp8 v[4:19], v[0:1], v[124:125], v[4:19]
	v_mov_b64_e32 v[56:57], v[72:73]
	v_mov_b64_e32 v[58:59], v[74:75]
	s_waitcnt vmcnt(0)
	v_mfma_f32_32x32x16_fp8_fp8 v[40:55], v[2:3], v[22:23], v[40:55]
	s_nop 7
	s_nop 2
	scratch_store_dwordx4 off, v[40:43], off offset:1904 ; 16-byte Folded Spill
	s_nop 0
	scratch_store_dwordx4 off, v[44:47], off offset:1920 ; 16-byte Folded Spill
	scratch_store_dwordx4 off, v[48:51], off offset:1936 ; 16-byte Folded Spill
	scratch_store_dwordx4 off, v[52:55], off offset:1952 ; 16-byte Folded Spill
	v_mfma_f32_32x32x16_fp8_fp8 v[4:19], v[2:3], v[126:127], v[4:19]
	s_nop 7
	s_nop 2
	scratch_store_dwordx4 off, v[4:7], off offset:2104 ; 16-byte Folded Spill
	s_nop 0
	scratch_store_dwordx4 off, v[8:11], off offset:2120 ; 16-byte Folded Spill
	scratch_store_dwordx4 off, v[12:15], off offset:2136 ; 16-byte Folded Spill
	;; [unrolled: 1-line block ×3, first 2 shown]
	scratch_load_dwordx4 v[0:3], off, off offset:3576 ; 16-byte Folded Reload
	s_nop 0
	scratch_load_dwordx4 v[4:7], off, off offset:3592 ; 16-byte Folded Reload
	scratch_load_dwordx4 v[8:11], off, off offset:3608 ; 16-byte Folded Reload
	;; [unrolled: 1-line block ×8, first 2 shown]
	s_waitcnt vmcnt(4)
	v_mfma_f32_32x32x16_fp8_fp8 v[0:15], v[48:49], v[36:37], v[0:15]
	scratch_load_dwordx4 v[80:83], off, off offset:3448 ; 16-byte Folded Reload
	scratch_load_dwordx4 v[84:87], off, off offset:3464 ; 16-byte Folded Reload
	;; [unrolled: 1-line block ×8, first 2 shown]
	v_mov_b64_e32 v[52:53], v[124:125]
	v_mov_b64_e32 v[54:55], v[126:127]
	;; [unrolled: 1-line block ×4, first 2 shown]
	s_waitcnt vmcnt(8)
	v_mfma_f32_32x32x16_fp8_fp8 v[96:111], v[48:49], v[32:33], v[96:111]
	v_mfma_f32_32x32x16_fp8_fp8 v[0:15], v[50:51], v[38:39], v[0:15]
	;; [unrolled: 1-line block ×3, first 2 shown]
	scratch_load_dwordx4 v[32:35], off, off offset:3320 ; 16-byte Folded Reload
	scratch_load_dwordx4 v[36:39], off, off offset:3336 ; 16-byte Folded Reload
	;; [unrolled: 1-line block ×8, first 2 shown]
	s_waitcnt vmcnt(12)
	v_mfma_f32_32x32x16_fp8_fp8 v[80:95], v[48:49], v[28:29], v[80:95]
	s_waitcnt vmcnt(4)
	v_mfma_f32_32x32x16_fp8_fp8 v[32:47], v[48:49], v[16:17], v[32:47]
	v_mfma_f32_32x32x16_fp8_fp8 v[80:95], v[50:51], v[30:31], v[80:95]
	v_mov_b64_e32 v[28:29], v[56:57]
	v_mov_b64_e32 v[30:31], v[58:59]
	v_mfma_f32_32x32x16_fp8_fp8 v[32:47], v[50:51], v[18:19], v[32:47]
	v_mov_b64_e32 v[16:17], v[20:21]
	v_mov_b64_e32 v[18:19], v[22:23]
	v_mfma_f32_32x32x16_fp8_fp8 v[64:79], v[48:49], v[28:29], v[64:79]
	s_waitcnt vmcnt(0)
	v_mfma_f32_32x32x16_fp8_fp8 v[112:127], v[48:49], v[16:17], v[112:127]
	v_mfma_f32_32x32x16_fp8_fp8 v[64:79], v[50:51], v[30:31], v[64:79]
	;; [unrolled: 1-line block ×3, first 2 shown]
	scratch_load_dwordx4 v[16:19], off, off offset:3640 ; 16-byte Folded Reload
	scratch_load_dwordx4 v[20:23], off, off offset:3656 ; 16-byte Folded Reload
	;; [unrolled: 1-line block ×4, first 2 shown]
	s_waitcnt vmcnt(0)
	v_mfma_f32_32x32x16_fp8_fp8 v[16:31], v[48:49], v[52:53], v[16:31]
	v_mfma_f32_32x32x16_fp8_fp8 v[16:31], v[50:51], v[54:55], v[16:31]
	scratch_load_dwordx4 v[48:51], off, off offset:2744 ; 16-byte Folded Reload
	scratch_load_dwordx4 v[52:55], off, off offset:2760 ; 16-byte Folded Reload
	;; [unrolled: 1-line block ×4, first 2 shown]
	s_waitcnt vmcnt(0)
	scratch_store_dwordx4 off, v[60:63], off offset:48
	scratch_store_dwordx4 off, v[56:59], off offset:32
	;; [unrolled: 1-line block ×3, first 2 shown]
	scratch_store_dwordx4 off, v[48:51], off
	scratch_load_dwordx4 v[48:51], off, off offset:2680 ; 16-byte Folded Reload
	s_nop 0
	scratch_load_dwordx4 v[52:55], off, off offset:2696 ; 16-byte Folded Reload
	scratch_load_dwordx4 v[56:59], off, off offset:2712 ; 16-byte Folded Reload
	scratch_load_dwordx4 v[60:63], off, off offset:2728 ; 16-byte Folded Reload
	s_waitcnt vmcnt(0)
	scratch_store_dwordx4 off, v[60:63], off offset:112
	scratch_store_dwordx4 off, v[56:59], off offset:96
	scratch_store_dwordx4 off, v[52:55], off offset:80
	scratch_store_dwordx4 off, v[48:51], off offset:64
	scratch_load_dwordx4 v[48:51], off, off offset:2616 ; 16-byte Folded Reload
	s_nop 0
	scratch_load_dwordx4 v[52:55], off, off offset:2632 ; 16-byte Folded Reload
	scratch_load_dwordx4 v[56:59], off, off offset:2648 ; 16-byte Folded Reload
	scratch_load_dwordx4 v[60:63], off, off offset:2664 ; 16-byte Folded Reload
	s_waitcnt vmcnt(0)
	scratch_store_dwordx4 off, v[60:63], off offset:176
	scratch_store_dwordx4 off, v[56:59], off offset:160
	scratch_store_dwordx4 off, v[52:55], off offset:144
	scratch_store_dwordx4 off, v[48:51], off offset:128
	;; [unrolled: 10-line block ×20, first 2 shown]
	scratch_store_dwordx4 off, v[12:15], off offset:1392
	scratch_store_dwordx4 off, v[8:11], off offset:1376
	scratch_store_dwordx4 off, v[4:7], off offset:1360
	scratch_store_dwordx4 off, v[0:3], off offset:3576 ; 16-byte Folded Spill
	s_nop 0
	scratch_store_dwordx4 off, v[4:7], off offset:3592 ; 16-byte Folded Spill
	scratch_store_dwordx4 off, v[8:11], off offset:3608 ; 16-byte Folded Spill
	scratch_store_dwordx4 off, v[12:15], off offset:3624 ; 16-byte Folded Spill
	scratch_store_dwordx4 off, v[0:3], off offset:1344
	scratch_store_dwordx4 off, v[108:111], off offset:1456
	scratch_store_dwordx4 off, v[104:107], off offset:1440
	scratch_store_dwordx4 off, v[100:103], off offset:1424
	scratch_store_dwordx4 off, v[96:99], off offset:3512 ; 16-byte Folded Spill
	s_nop 0
	scratch_store_dwordx4 off, v[100:103], off offset:3528 ; 16-byte Folded Spill
	scratch_store_dwordx4 off, v[104:107], off offset:3544 ; 16-byte Folded Spill
	scratch_store_dwordx4 off, v[108:111], off offset:3560 ; 16-byte Folded Spill
	scratch_store_dwordx4 off, v[96:99], off offset:1408
	;; [unrolled: 9-line block ×5, first 2 shown]
	scratch_store_dwordx4 off, v[124:127], off offset:1712
	scratch_store_dwordx4 off, v[120:123], off offset:1696
	;; [unrolled: 1-line block ×7, first 2 shown]
	scratch_store_dwordx4 off, v[16:19], off offset:3640 ; 16-byte Folded Spill
	s_nop 0
	scratch_store_dwordx4 off, v[20:23], off offset:3656 ; 16-byte Folded Spill
	scratch_store_dwordx4 off, v[24:27], off offset:3672 ; 16-byte Folded Spill
	scratch_store_dwordx4 off, v[28:31], off offset:3688 ; 16-byte Folded Spill
	scratch_store_dwordx4 off, v[16:19], off offset:1728
.LBB39_10:                              ;   in Loop: Header=BB39_11 Depth=2
	s_or_b64 exec, exec, s[2:3]
	scratch_load_dwordx2 v[18:19], off, off offset:2096 ; 8-byte Folded Reload
	s_addk_i32 s42, 0x400
	s_cmp_ge_u32 s42, s20
	s_waitcnt vmcnt(0)
	v_add_u32_e32 v18, 0x400, v18
	s_cbranch_scc1 .LBB39_30
.LBB39_11:                              ;   Parent Loop BB39_7 Depth=1
                                        ; =>  This Loop Header: Depth=2
                                        ;       Child Loop BB39_13 Depth 3
	scratch_load_dwordx2 v[16:17], off, off offset:3704 ; 8-byte Folded Reload
	s_nop 0
	scratch_store_dwordx2 off, v[18:19], off offset:2096 ; 8-byte Folded Spill
	s_waitcnt vmcnt(1)
	v_add_u32_e32 v18, s42, v16
	v_cmp_gt_u32_e32 vcc, s20, v18
	s_and_saveexec_b64 s[2:3], vcc
	s_cbranch_execz .LBB39_10
; %bb.12:                               ;   in Loop: Header=BB39_11 Depth=2
	scratch_store_dwordx4 off, v[112:115], off offset:3712 ; 16-byte Folded Spill
	s_nop 0
	scratch_store_dwordx4 off, v[116:119], off offset:3728 ; 16-byte Folded Spill
	scratch_store_dwordx4 off, v[120:123], off offset:3744 ; 16-byte Folded Spill
	scratch_store_dwordx4 off, v[124:127], off offset:3760 ; 16-byte Folded Spill
	scratch_load_dwordx2 v[0:1], off, off offset:2096 ; 8-byte Folded Reload
	v_mov_b32_e32 v19, 0x700
	s_mov_b32 s5, 0
	s_mov_b64 s[6:7], 0
	s_waitcnt vmcnt(0) lgkmcnt(0)
	v_lshl_add_u64 v[16:17], s[26:27], 0, v[0:1]
	scratch_load_dwordx2 v[0:1], off, off offset:3840 ; 8-byte Folded Reload
.LBB39_13:                              ;   Parent Loop BB39_7 Depth=1
                                        ;     Parent Loop BB39_11 Depth=2
                                        ; =>    This Inner Loop Header: Depth=3
	global_load_dwordx4 v[20:23], v[16:17], off nt
	s_add_i32 s10, s5, 1
	s_cmp_gt_u32 s5, 5
	s_cselect_b64 s[8:9], -1, 0
	v_lshl_add_u64 v[16:17], v[16:17], 0, s[34:35]
	s_mov_b32 s5, s10
	s_waitcnt vmcnt(0)
	scratch_store_dwordx4 v19, v[20:23], off
	s_nop 1
	v_add_u32_e32 v20, s10, v0
	v_cmp_le_u32_e32 vcc, s22, v20
	s_or_b64 s[8:9], s[8:9], vcc
	s_and_b64 s[8:9], exec, s[8:9]
	v_add_u32_e32 v19, 16, v19
	s_or_b64 s[6:7], s[8:9], s[6:7]
	s_andn2_b64 exec, exec, s[6:7]
	s_cbranch_execnz .LBB39_13
; %bb.14:                               ;   in Loop: Header=BB39_11 Depth=2
	s_or_b64 exec, exec, s[6:7]
	v_cmp_lt_u32_e32 vcc, s21, v18
                                        ; implicit-def: $vgpr48_vgpr49
	s_and_saveexec_b64 s[6:7], vcc
	s_xor_b64 s[6:7], exec, s[6:7]
	s_cbranch_execz .LBB39_16
; %bb.15:                               ;   in Loop: Header=BB39_11 Depth=2
	global_load_dwordx4 v[48:51], v18, s[24:25]
.LBB39_16:                              ;   in Loop: Header=BB39_11 Depth=2
	s_andn2_saveexec_b64 s[6:7], s[6:7]
	s_cbranch_execz .LBB39_18
; %bb.17:                               ;   in Loop: Header=BB39_11 Depth=2
	s_waitcnt vmcnt(0)
	ds_read_b128 v[48:51], v18
.LBB39_18:                              ;   in Loop: Header=BB39_11 Depth=2
	s_or_b64 exec, exec, s[6:7]
	v_add_u32_e32 v16, s20, v18
	v_cmp_lt_u32_e32 vcc, s21, v16
                                        ; implicit-def: $vgpr0_vgpr1
	scratch_store_dwordx4 off, v[0:3], off offset:3288 ; 16-byte Folded Spill
	s_and_saveexec_b64 s[6:7], vcc
	s_xor_b64 s[6:7], exec, s[6:7]
	s_cbranch_execz .LBB39_20
; %bb.19:                               ;   in Loop: Header=BB39_11 Depth=2
	global_load_dwordx4 v[0:3], v16, s[24:25]
	s_waitcnt vmcnt(0)
	scratch_store_dwordx4 off, v[0:3], off offset:3288 ; 16-byte Folded Spill
.LBB39_20:                              ;   in Loop: Header=BB39_11 Depth=2
	s_andn2_saveexec_b64 s[6:7], s[6:7]
	s_cbranch_execz .LBB39_22
; %bb.21:                               ;   in Loop: Header=BB39_11 Depth=2
	ds_read_b128 v[0:3], v16
	s_waitcnt lgkmcnt(0)
	scratch_store_dwordx4 off, v[0:3], off offset:3288 ; 16-byte Folded Spill
.LBB39_22:                              ;   in Loop: Header=BB39_11 Depth=2
	s_or_b64 exec, exec, s[6:7]
	v_add_u32_e32 v16, s20, v16
	v_cmp_lt_u32_e32 vcc, s21, v16
                                        ; implicit-def: $vgpr0_vgpr1
	scratch_store_dwordx4 off, v[0:3], off offset:3272 ; 16-byte Folded Spill
	s_and_saveexec_b64 s[6:7], vcc
	s_xor_b64 s[6:7], exec, s[6:7]
	s_cbranch_execz .LBB39_24
; %bb.23:                               ;   in Loop: Header=BB39_11 Depth=2
	global_load_dwordx4 v[0:3], v16, s[24:25]
	s_waitcnt vmcnt(0)
	scratch_store_dwordx4 off, v[0:3], off offset:3272 ; 16-byte Folded Spill
.LBB39_24:                              ;   in Loop: Header=BB39_11 Depth=2
	s_andn2_saveexec_b64 s[6:7], s[6:7]
	s_cbranch_execz .LBB39_26
; %bb.25:                               ;   in Loop: Header=BB39_11 Depth=2
	ds_read_b128 v[0:3], v16
	s_waitcnt lgkmcnt(0)
	scratch_store_dwordx4 off, v[0:3], off offset:3272 ; 16-byte Folded Spill
.LBB39_26:                              ;   in Loop: Header=BB39_11 Depth=2
	s_or_b64 exec, exec, s[6:7]
	v_add_u32_e32 v16, s20, v16
	v_cmp_lt_u32_e32 vcc, s21, v16
                                        ; implicit-def: $vgpr0_vgpr1
	scratch_store_dwordx4 off, v[0:3], off offset:3256 ; 16-byte Folded Spill
	s_and_saveexec_b64 s[6:7], vcc
	s_xor_b64 s[6:7], exec, s[6:7]
	s_cbranch_execz .LBB39_28
; %bb.27:                               ;   in Loop: Header=BB39_11 Depth=2
	global_load_dwordx4 v[0:3], v16, s[24:25]
                                        ; implicit-def: $vgpr16
	s_waitcnt vmcnt(0)
	scratch_store_dwordx4 off, v[0:3], off offset:3256 ; 16-byte Folded Spill
.LBB39_28:                              ;   in Loop: Header=BB39_11 Depth=2
	s_andn2_saveexec_b64 s[6:7], s[6:7]
	s_cbranch_execz .LBB39_9
; %bb.29:                               ;   in Loop: Header=BB39_11 Depth=2
	ds_read_b128 v[0:3], v16
	s_waitcnt lgkmcnt(0)
	scratch_store_dwordx4 off, v[0:3], off offset:3256 ; 16-byte Folded Spill
	s_branch .LBB39_9
.LBB39_30:                              ;   in Loop: Header=BB39_7 Depth=1
	scratch_load_dword v20, off, off offset:3872 ; 4-byte Folded Reload
	v_mov_b32_e32 v21, v19
	s_mov_b32 s2, 0
.LBB39_31:                              ;   Parent Loop BB39_7 Depth=1
                                        ; =>  This Inner Loop Header: Depth=2
	s_add_i32 s3, s2, 0
	scratch_load_dwordx4 v[0:3], off, s3 offset:48
	scratch_load_dwordx4 v[4:7], off, s3 offset:32
	scratch_load_dwordx4 v[8:11], off, s3
	scratch_load_dwordx4 v[12:15], off, s3 offset:16
	s_add_i32 s2, s2, 64
	s_cmpk_lg_i32 s2, 0x1c0
	s_waitcnt vmcnt(2)
	;;#ASMSTART
	v_add_f32 v4, v5, v4 row_shl:1 bound_ctrl:0 
	;;#ASMEND
	s_nop 0
	;;#ASMSTART
	v_add_f32 v4, v6, v4 row_shl:2 bound_ctrl:0 
	;;#ASMEND
	s_waitcnt vmcnt(1)
	;;#ASMSTART
	v_add_f32 v8, v9, v8 row_shl:1 bound_ctrl:0 
	;;#ASMEND
	;;#ASMSTART
	v_add_f32 v4, v7, v4 row_shl:3 bound_ctrl:0 
	;;#ASMEND
	s_nop 0
	;;#ASMSTART
	v_add_f32 v8, v10, v8 row_shl:2 bound_ctrl:0 
	;;#ASMEND
	;;#ASMSTART
	v_add_f32 v4, v0, v4 row_shl:8 bound_ctrl:0 
	;;#ASMEND
	s_nop 0
	;;#ASMSTART
	v_add_f32 v8, v11, v8 row_shl:3 bound_ctrl:0 
	;;#ASMEND
	;;#ASMSTART
	v_add_f32 v4, v1, v4 row_shl:9 bound_ctrl:0 
	;;#ASMEND
	s_waitcnt vmcnt(0)
	;;#ASMSTART
	v_add_f32 v8, v12, v8 row_shl:8 bound_ctrl:0 
	;;#ASMEND
	;;#ASMSTART
	v_add_f32 v4, v2, v4 row_shl:10 bound_ctrl:0 
	;;#ASMEND
	s_nop 0
	;;#ASMSTART
	v_add_f32 v8, v13, v8 row_shl:9 bound_ctrl:0 
	;;#ASMEND
	;;#ASMSTART
	v_add_f32 v4, v3, v4 row_shl:11 bound_ctrl:0 
	;;#ASMEND
	ds_bpermute_b32 v0, v20, v4 offset:208
	;;#ASMSTART
	v_add_f32 v8, v14, v8 row_shl:10 bound_ctrl:0 
	;;#ASMEND
	s_waitcnt lgkmcnt(0)
	v_add_f32_e32 v0, v4, v0
	;;#ASMSTART
	v_add_f32 v8, v15, v8 row_shl:11 bound_ctrl:0 
	;;#ASMEND
	ds_bpermute_b32 v1, v20, v8 offset:144
	ds_bpermute_b32 v0, v20, v0 offset:64
	s_waitcnt lgkmcnt(1)
	v_add_f32_e32 v1, v8, v1
	s_waitcnt lgkmcnt(0)
	v_add_f32_e32 v0, v1, v0
	scratch_store_dword off, v0, s3
	s_cbranch_scc1 .LBB39_31
; %bb.32:                               ;   in Loop: Header=BB39_7 Depth=1
	v_or_b32_e32 v0, 0x90, v20
	v_or_b32_e32 v1, 0xd0, v20
	;; [unrolled: 1-line block ×3, first 2 shown]
	s_movk_i32 s2, 0x1c0
.LBB39_33:                              ;   Parent Loop BB39_7 Depth=1
                                        ; =>  This Inner Loop Header: Depth=2
	s_add_i32 s3, s2, 0
	scratch_load_dwordx4 v[4:7], off, s3 offset:48
	scratch_load_dwordx4 v[8:11], off, s3 offset:32
	scratch_load_dwordx4 v[12:15], off, s3
	scratch_load_dwordx4 v[16:19], off, s3 offset:16
	s_add_i32 s2, s2, 64
	s_cmpk_lg_i32 s2, 0x380
	s_waitcnt vmcnt(2)
	;;#ASMSTART
	v_add_f32 v8, v9, v8 row_shl:1 bound_ctrl:0 
	;;#ASMEND
	s_nop 0
	;;#ASMSTART
	v_add_f32 v8, v10, v8 row_shl:2 bound_ctrl:0 
	;;#ASMEND
	s_waitcnt vmcnt(1)
	;;#ASMSTART
	v_add_f32 v12, v13, v12 row_shl:1 bound_ctrl:0 
	;;#ASMEND
	;;#ASMSTART
	v_add_f32 v8, v11, v8 row_shl:3 bound_ctrl:0 
	;;#ASMEND
	s_nop 0
	;;#ASMSTART
	v_add_f32 v12, v14, v12 row_shl:2 bound_ctrl:0 
	;;#ASMEND
	;;#ASMSTART
	v_add_f32 v8, v4, v8 row_shl:8 bound_ctrl:0 
	;;#ASMEND
	s_nop 0
	;;#ASMSTART
	v_add_f32 v12, v15, v12 row_shl:3 bound_ctrl:0 
	;;#ASMEND
	;;#ASMSTART
	v_add_f32 v8, v5, v8 row_shl:9 bound_ctrl:0 
	;;#ASMEND
	s_waitcnt vmcnt(0)
	;;#ASMSTART
	v_add_f32 v12, v16, v12 row_shl:8 bound_ctrl:0 
	;;#ASMEND
	;;#ASMSTART
	v_add_f32 v8, v6, v8 row_shl:10 bound_ctrl:0 
	;;#ASMEND
	s_nop 0
	;;#ASMSTART
	v_add_f32 v12, v17, v12 row_shl:9 bound_ctrl:0 
	;;#ASMEND
	;;#ASMSTART
	v_add_f32 v8, v7, v8 row_shl:11 bound_ctrl:0 
	;;#ASMEND
	ds_bpermute_b32 v3, v1, v8
	;;#ASMSTART
	v_add_f32 v12, v18, v12 row_shl:10 bound_ctrl:0 
	;;#ASMEND
	s_waitcnt lgkmcnt(0)
	v_add_f32_e32 v3, v8, v3
	;;#ASMSTART
	v_add_f32 v12, v19, v12 row_shl:11 bound_ctrl:0 
	;;#ASMEND
	ds_bpermute_b32 v4, v0, v12
	ds_bpermute_b32 v3, v2, v3
	s_waitcnt lgkmcnt(1)
	v_add_f32_e32 v4, v12, v4
	s_waitcnt lgkmcnt(0)
	v_add_f32_e32 v3, v4, v3
	scratch_store_dword off, v3, s3
	s_cbranch_scc1 .LBB39_33
; %bb.34:                               ;   in Loop: Header=BB39_7 Depth=1
	s_movk_i32 s2, 0x380
.LBB39_35:                              ;   Parent Loop BB39_7 Depth=1
                                        ; =>  This Inner Loop Header: Depth=2
	s_add_i32 s3, s2, 0
	scratch_load_dwordx4 v[4:7], off, s3 offset:48
	scratch_load_dwordx4 v[8:11], off, s3 offset:32
	scratch_load_dwordx4 v[12:15], off, s3
	scratch_load_dwordx4 v[16:19], off, s3 offset:16
	s_add_i32 s2, s2, 64
	s_cmpk_lg_i32 s2, 0x540
	s_waitcnt vmcnt(2)
	;;#ASMSTART
	v_add_f32 v8, v9, v8 row_shl:1 bound_ctrl:0 
	;;#ASMEND
	s_nop 0
	;;#ASMSTART
	v_add_f32 v8, v10, v8 row_shl:2 bound_ctrl:0 
	;;#ASMEND
	s_waitcnt vmcnt(1)
	;;#ASMSTART
	v_add_f32 v12, v13, v12 row_shl:1 bound_ctrl:0 
	;;#ASMEND
	;;#ASMSTART
	v_add_f32 v8, v11, v8 row_shl:3 bound_ctrl:0 
	;;#ASMEND
	s_nop 0
	;;#ASMSTART
	v_add_f32 v12, v14, v12 row_shl:2 bound_ctrl:0 
	;;#ASMEND
	;;#ASMSTART
	v_add_f32 v8, v4, v8 row_shl:8 bound_ctrl:0 
	;;#ASMEND
	s_nop 0
	;;#ASMSTART
	v_add_f32 v12, v15, v12 row_shl:3 bound_ctrl:0 
	;;#ASMEND
	;;#ASMSTART
	v_add_f32 v8, v5, v8 row_shl:9 bound_ctrl:0 
	;;#ASMEND
	s_waitcnt vmcnt(0)
	;;#ASMSTART
	v_add_f32 v12, v16, v12 row_shl:8 bound_ctrl:0 
	;;#ASMEND
	;;#ASMSTART
	v_add_f32 v8, v6, v8 row_shl:10 bound_ctrl:0 
	;;#ASMEND
	s_nop 0
	;;#ASMSTART
	v_add_f32 v12, v17, v12 row_shl:9 bound_ctrl:0 
	;;#ASMEND
	;;#ASMSTART
	v_add_f32 v8, v7, v8 row_shl:11 bound_ctrl:0 
	;;#ASMEND
	ds_bpermute_b32 v3, v1, v8
	;;#ASMSTART
	v_add_f32 v12, v18, v12 row_shl:10 bound_ctrl:0 
	;;#ASMEND
	s_waitcnt lgkmcnt(0)
	v_add_f32_e32 v3, v8, v3
	;;#ASMSTART
	v_add_f32 v12, v19, v12 row_shl:11 bound_ctrl:0 
	;;#ASMEND
	ds_bpermute_b32 v4, v0, v12
	ds_bpermute_b32 v3, v2, v3
	s_waitcnt lgkmcnt(1)
	v_add_f32_e32 v4, v12, v4
	s_waitcnt lgkmcnt(0)
	v_add_f32_e32 v3, v4, v3
	scratch_store_dword off, v3, s3
	s_cbranch_scc1 .LBB39_35
; %bb.36:                               ;   in Loop: Header=BB39_7 Depth=1
	s_movk_i32 s2, 0x540
.LBB39_37:                              ;   Parent Loop BB39_7 Depth=1
                                        ; =>  This Inner Loop Header: Depth=2
	s_add_i32 s3, s2, 0
	scratch_load_dwordx4 v[4:7], off, s3 offset:48
	scratch_load_dwordx4 v[8:11], off, s3 offset:32
	scratch_load_dwordx4 v[12:15], off, s3
	scratch_load_dwordx4 v[16:19], off, s3 offset:16
	s_add_i32 s2, s2, 64
	s_cmpk_lg_i32 s2, 0x700
	s_waitcnt vmcnt(2)
	;;#ASMSTART
	v_add_f32 v8, v9, v8 row_shl:1 bound_ctrl:0 
	;;#ASMEND
	s_nop 0
	;;#ASMSTART
	v_add_f32 v8, v10, v8 row_shl:2 bound_ctrl:0 
	;;#ASMEND
	s_waitcnt vmcnt(1)
	;;#ASMSTART
	v_add_f32 v12, v13, v12 row_shl:1 bound_ctrl:0 
	;;#ASMEND
	;;#ASMSTART
	v_add_f32 v8, v11, v8 row_shl:3 bound_ctrl:0 
	;;#ASMEND
	s_nop 0
	;;#ASMSTART
	v_add_f32 v12, v14, v12 row_shl:2 bound_ctrl:0 
	;;#ASMEND
	;;#ASMSTART
	v_add_f32 v8, v4, v8 row_shl:8 bound_ctrl:0 
	;;#ASMEND
	s_nop 0
	;;#ASMSTART
	v_add_f32 v12, v15, v12 row_shl:3 bound_ctrl:0 
	;;#ASMEND
	;;#ASMSTART
	v_add_f32 v8, v5, v8 row_shl:9 bound_ctrl:0 
	;;#ASMEND
	s_waitcnt vmcnt(0)
	;;#ASMSTART
	v_add_f32 v12, v16, v12 row_shl:8 bound_ctrl:0 
	;;#ASMEND
	;;#ASMSTART
	v_add_f32 v8, v6, v8 row_shl:10 bound_ctrl:0 
	;;#ASMEND
	s_nop 0
	;;#ASMSTART
	v_add_f32 v12, v17, v12 row_shl:9 bound_ctrl:0 
	;;#ASMEND
	;;#ASMSTART
	v_add_f32 v8, v7, v8 row_shl:11 bound_ctrl:0 
	;;#ASMEND
	ds_bpermute_b32 v3, v1, v8
	;;#ASMSTART
	v_add_f32 v12, v18, v12 row_shl:10 bound_ctrl:0 
	;;#ASMEND
	s_waitcnt lgkmcnt(0)
	v_add_f32_e32 v3, v8, v3
	;;#ASMSTART
	v_add_f32 v12, v19, v12 row_shl:11 bound_ctrl:0 
	;;#ASMEND
	ds_bpermute_b32 v4, v0, v12
	ds_bpermute_b32 v3, v2, v3
	s_waitcnt lgkmcnt(1)
	v_add_f32_e32 v4, v12, v4
	s_waitcnt lgkmcnt(0)
	v_add_f32_e32 v3, v4, v3
	scratch_store_dword off, v3, s3
	s_cbranch_scc1 .LBB39_37
; %bb.38:                               ;   in Loop: Header=BB39_7 Depth=1
	s_mov_b64 s[6:7], exec
	scratch_load_dwordx2 v[10:11], off, off offset:3840 ; 8-byte Folded Reload
	s_and_b64 s[2:3], s[6:7], s[0:1]
	v_mov_b32_e32 v19, v21
	s_mov_b64 exec, s[2:3]
	s_cbranch_execz .LBB39_6
; %bb.39:                               ;   in Loop: Header=BB39_7 Depth=1
	scratch_load_dwordx4 v[4:7], off, off
	s_waitcnt vmcnt(1)
	v_mov_b32_e32 v11, v19
	v_add_u32_e32 v2, 1, v10
	v_lshl_add_u64 v[0:1], v[10:11], 1, s[28:29]
	v_cmp_gt_u32_e32 vcc, s22, v2
	s_waitcnt vmcnt(0)
	v_mul_f32_e32 v3, s23, v4
	v_fma_mixlo_f16 v3, s33, v3, 0
	global_store_short v[0:1], v3, off
	s_and_saveexec_b64 s[8:9], vcc
	s_cbranch_execz .LBB39_46
; %bb.40:                               ;   in Loop: Header=BB39_7 Depth=1
	scratch_load_dwordx4 v[4:7], off, off offset:64
	v_add_u32_e32 v3, 2, v10
	v_cmp_gt_u32_e64 s[2:3], s22, v3
	s_waitcnt vmcnt(0)
	v_mul_f32_e32 v4, s23, v4
	v_fma_mixlo_f16 v4, s33, v4, 0
	global_store_short v[0:1], v4, off offset:2
	s_and_b64 exec, exec, s[2:3]
	s_cbranch_execz .LBB39_46
; %bb.41:                               ;   in Loop: Header=BB39_7 Depth=1
	scratch_load_dwordx4 v[4:7], off, off offset:128
	v_add_u32_e32 v3, 3, v10
	v_cmp_gt_u32_e64 s[2:3], s22, v3
	s_waitcnt vmcnt(0)
	v_mul_f32_e32 v4, s23, v4
	v_fma_mixlo_f16 v4, s33, v4, 0
	global_store_short v[0:1], v4, off offset:4
	s_and_b64 exec, exec, s[2:3]
	;; [unrolled: 10-line block ×5, first 2 shown]
	s_cbranch_execz .LBB39_46
; %bb.45:                               ;   in Loop: Header=BB39_7 Depth=1
	scratch_load_dwordx4 v[4:7], off, off offset:384
	s_waitcnt vmcnt(0)
	v_mul_f32_e32 v3, s23, v4
	v_fma_mixlo_f16 v3, s33, v3, 0
	global_store_short v[0:1], v3, off offset:12
.LBB39_46:                              ;   in Loop: Header=BB39_7 Depth=1
	s_or_b64 exec, exec, s[8:9]
	scratch_load_dwordx4 v[4:7], off, off offset:448
	v_add_u32_e32 v18, s22, v10
	s_waitcnt vmcnt(0)
	v_mul_f32_e32 v0, s23, v4
	v_fma_mixlo_f16 v3, s33, v0, 0
	v_lshl_add_u64 v[0:1], v[18:19], 1, s[28:29]
	global_store_short v[0:1], v3, off
	s_and_saveexec_b64 s[8:9], vcc
	s_cbranch_execz .LBB39_53
; %bb.47:                               ;   in Loop: Header=BB39_7 Depth=1
	scratch_load_dwordx4 v[4:7], off, off offset:512
	s_waitcnt vmcnt(0)
	v_add_u32_e32 v6, s22, v2
	v_mov_b32_e32 v7, v19
	v_add_u32_e32 v0, 2, v10
	v_lshl_add_u64 v[6:7], v[6:7], 1, s[28:29]
	v_cmp_gt_u32_e64 s[2:3], s22, v0
	v_mul_f32_e32 v1, s23, v4
	v_fma_mixlo_f16 v1, s33, v1, 0
	global_store_short v[6:7], v1, off
	s_and_b64 exec, exec, s[2:3]
	s_cbranch_execz .LBB39_53
; %bb.48:                               ;   in Loop: Header=BB39_7 Depth=1
	scratch_load_dwordx4 v[4:7], off, off offset:576
	s_waitcnt vmcnt(0)
	v_add_u32_e32 v6, s22, v0
	v_mov_b32_e32 v7, v19
	v_add_u32_e32 v0, 3, v10
	v_lshl_add_u64 v[6:7], v[6:7], 1, s[28:29]
	v_cmp_gt_u32_e64 s[2:3], s22, v0
	v_mul_f32_e32 v1, s23, v4
	v_fma_mixlo_f16 v1, s33, v1, 0
	global_store_short v[6:7], v1, off
	s_and_b64 exec, exec, s[2:3]
	;; [unrolled: 13-line block ×5, first 2 shown]
	s_cbranch_execz .LBB39_53
; %bb.52:                               ;   in Loop: Header=BB39_7 Depth=1
	scratch_load_dwordx4 v[4:7], off, off offset:832
	v_add_u32_e32 v0, s22, v0
	v_mov_b32_e32 v1, v19
	v_lshl_add_u64 v[0:1], v[0:1], 1, s[28:29]
	s_waitcnt vmcnt(0)
	v_mul_f32_e32 v3, s23, v4
	v_fma_mixlo_f16 v3, s33, v3, 0
	global_store_short v[0:1], v3, off
.LBB39_53:                              ;   in Loop: Header=BB39_7 Depth=1
	s_or_b64 exec, exec, s[8:9]
	scratch_load_dwordx4 v[4:7], off, off offset:896
	v_add_u32_e32 v18, s22, v18
	s_waitcnt vmcnt(0)
	v_mul_f32_e32 v0, s23, v4
	v_fma_mixlo_f16 v3, s33, v0, 0
	v_lshl_add_u64 v[0:1], v[18:19], 1, s[28:29]
	global_store_short v[0:1], v3, off
	s_and_saveexec_b64 s[8:9], vcc
	s_cbranch_execz .LBB39_60
; %bb.54:                               ;   in Loop: Header=BB39_7 Depth=1
	scratch_load_dwordx4 v[4:7], off, off offset:960
	s_waitcnt vmcnt(0)
	v_add_u32_e32 v6, s39, v2
	v_mov_b32_e32 v7, v19
	v_add_u32_e32 v0, 2, v10
	v_lshl_add_u64 v[6:7], v[6:7], 1, s[28:29]
	v_cmp_gt_u32_e64 s[2:3], s22, v0
	v_mul_f32_e32 v1, s23, v4
	v_fma_mixlo_f16 v1, s33, v1, 0
	global_store_short v[6:7], v1, off
	s_and_b64 exec, exec, s[2:3]
	s_cbranch_execz .LBB39_60
; %bb.55:                               ;   in Loop: Header=BB39_7 Depth=1
	scratch_load_dwordx4 v[4:7], off, off offset:1024
	s_waitcnt vmcnt(0)
	v_add_u32_e32 v6, s39, v0
	v_mov_b32_e32 v7, v19
	v_add_u32_e32 v0, 3, v10
	v_lshl_add_u64 v[6:7], v[6:7], 1, s[28:29]
	v_cmp_gt_u32_e64 s[2:3], s22, v0
	v_mul_f32_e32 v1, s23, v4
	v_fma_mixlo_f16 v1, s33, v1, 0
	global_store_short v[6:7], v1, off
	s_and_b64 exec, exec, s[2:3]
	;; [unrolled: 13-line block ×5, first 2 shown]
	s_cbranch_execz .LBB39_60
; %bb.59:                               ;   in Loop: Header=BB39_7 Depth=1
	scratch_load_dwordx4 v[4:7], off, off offset:1280
	v_add_u32_e32 v0, s39, v0
	v_mov_b32_e32 v1, v19
	v_lshl_add_u64 v[0:1], v[0:1], 1, s[28:29]
	s_waitcnt vmcnt(0)
	v_mul_f32_e32 v3, s23, v4
	v_fma_mixlo_f16 v3, s33, v3, 0
	global_store_short v[0:1], v3, off
.LBB39_60:                              ;   in Loop: Header=BB39_7 Depth=1
	s_or_b64 exec, exec, s[8:9]
	scratch_load_dwordx4 v[4:7], off, off offset:1344
	v_add_u32_e32 v18, s22, v18
	s_waitcnt vmcnt(0)
	v_mul_f32_e32 v0, s23, v4
	v_fma_mixlo_f16 v3, s33, v0, 0
	v_lshl_add_u64 v[0:1], v[18:19], 1, s[28:29]
	global_store_short v[0:1], v3, off
	s_and_b64 exec, exec, vcc
	s_cbranch_execz .LBB39_6
; %bb.61:                               ;   in Loop: Header=BB39_7 Depth=1
	scratch_load_dwordx4 v[4:7], off, off offset:1408
	v_add_u32_e32 v18, s40, v2
	v_add_u32_e32 v0, 2, v10
	v_lshl_add_u64 v[2:3], v[18:19], 1, s[28:29]
	v_cmp_gt_u32_e32 vcc, s22, v0
	s_waitcnt vmcnt(0)
	v_mul_f32_e32 v1, s23, v4
	v_fma_mixlo_f16 v1, s33, v1, 0
	global_store_short v[2:3], v1, off
	s_and_b64 exec, exec, vcc
	s_cbranch_execz .LBB39_6
; %bb.62:                               ;   in Loop: Header=BB39_7 Depth=1
	scratch_load_dwordx4 v[2:5], off, off offset:1472
	v_add_u32_e32 v18, s40, v0
	v_add_u32_e32 v0, 3, v10
	s_waitcnt vmcnt(0)
	v_lshl_add_u64 v[4:5], v[18:19], 1, s[28:29]
	v_cmp_gt_u32_e32 vcc, s22, v0
	v_mul_f32_e32 v1, s23, v2
	v_fma_mixlo_f16 v1, s33, v1, 0
	global_store_short v[4:5], v1, off
	s_and_b64 exec, exec, vcc
	s_cbranch_execz .LBB39_6
; %bb.63:                               ;   in Loop: Header=BB39_7 Depth=1
	scratch_load_dwordx4 v[2:5], off, off offset:1536
	v_add_u32_e32 v18, s40, v0
	v_add_u32_e32 v0, 4, v10
	s_waitcnt vmcnt(0)
	v_lshl_add_u64 v[4:5], v[18:19], 1, s[28:29]
	v_cmp_gt_u32_e32 vcc, s22, v0
	;; [unrolled: 12-line block ×4, first 2 shown]
	v_mul_f32_e32 v1, s23, v2
	v_fma_mixlo_f16 v1, s33, v1, 0
	global_store_short v[4:5], v1, off
	s_and_b64 exec, exec, vcc
	s_cbranch_execz .LBB39_6
; %bb.66:                               ;   in Loop: Header=BB39_7 Depth=1
	scratch_load_dwordx4 v[2:5], off, off offset:1728
	v_add_u32_e32 v18, s40, v0
	s_waitcnt vmcnt(0)
	v_mul_f32_e32 v0, s23, v2
	v_fma_mixlo_f16 v2, s33, v0, 0
	v_lshl_add_u64 v[0:1], v[18:19], 1, s[28:29]
	global_store_short v[0:1], v2, off
	s_branch .LBB39_6
.LBB39_67:
	s_endpgm
	.section	.rodata,"a",@progbits
	.p2align	6, 0x0
	.amdhsa_kernel _Z13wvSplitKQ_hf_I6__halfN3c1013Float8_e4m3fnELi64ELi7ELi16ELi16ELi1ELi4EEviiiPKT0_S5_PT_PKfS9_ii
		.amdhsa_group_segment_fixed_size 65536
		.amdhsa_private_segment_fixed_size 3904
		.amdhsa_kernarg_size 64
		.amdhsa_user_sgpr_count 2
		.amdhsa_user_sgpr_dispatch_ptr 0
		.amdhsa_user_sgpr_queue_ptr 0
		.amdhsa_user_sgpr_kernarg_segment_ptr 1
		.amdhsa_user_sgpr_dispatch_id 0
		.amdhsa_user_sgpr_kernarg_preload_length 0
		.amdhsa_user_sgpr_kernarg_preload_offset 0
		.amdhsa_user_sgpr_private_segment_size 0
		.amdhsa_uses_dynamic_stack 0
		.amdhsa_enable_private_segment 1
		.amdhsa_system_sgpr_workgroup_id_x 1
		.amdhsa_system_sgpr_workgroup_id_y 0
		.amdhsa_system_sgpr_workgroup_id_z 0
		.amdhsa_system_sgpr_workgroup_info 0
		.amdhsa_system_vgpr_workitem_id 1
		.amdhsa_next_free_vgpr 128
		.amdhsa_next_free_sgpr 43
		.amdhsa_accum_offset 128
		.amdhsa_reserve_vcc 1
		.amdhsa_float_round_mode_32 0
		.amdhsa_float_round_mode_16_64 0
		.amdhsa_float_denorm_mode_32 3
		.amdhsa_float_denorm_mode_16_64 3
		.amdhsa_dx10_clamp 1
		.amdhsa_ieee_mode 1
		.amdhsa_fp16_overflow 0
		.amdhsa_tg_split 0
		.amdhsa_exception_fp_ieee_invalid_op 0
		.amdhsa_exception_fp_denorm_src 0
		.amdhsa_exception_fp_ieee_div_zero 0
		.amdhsa_exception_fp_ieee_overflow 0
		.amdhsa_exception_fp_ieee_underflow 0
		.amdhsa_exception_fp_ieee_inexact 0
		.amdhsa_exception_int_div_zero 0
	.end_amdhsa_kernel
	.section	.text._Z13wvSplitKQ_hf_I6__halfN3c1013Float8_e4m3fnELi64ELi7ELi16ELi16ELi1ELi4EEviiiPKT0_S5_PT_PKfS9_ii,"axG",@progbits,_Z13wvSplitKQ_hf_I6__halfN3c1013Float8_e4m3fnELi64ELi7ELi16ELi16ELi1ELi4EEviiiPKT0_S5_PT_PKfS9_ii,comdat
.Lfunc_end39:
	.size	_Z13wvSplitKQ_hf_I6__halfN3c1013Float8_e4m3fnELi64ELi7ELi16ELi16ELi1ELi4EEviiiPKT0_S5_PT_PKfS9_ii, .Lfunc_end39-_Z13wvSplitKQ_hf_I6__halfN3c1013Float8_e4m3fnELi64ELi7ELi16ELi16ELi1ELi4EEviiiPKT0_S5_PT_PKfS9_ii
                                        ; -- End function
	.section	.AMDGPU.csdata,"",@progbits
; Kernel info:
; codeLenInByte = 10908
; NumSgprs: 49
; NumVgprs: 128
; NumAgprs: 0
; TotalNumVgprs: 128
; ScratchSize: 3904
; MemoryBound: 1
; FloatMode: 240
; IeeeMode: 1
; LDSByteSize: 65536 bytes/workgroup (compile time only)
; SGPRBlocks: 6
; VGPRBlocks: 15
; NumSGPRsForWavesPerEU: 49
; NumVGPRsForWavesPerEU: 128
; AccumOffset: 128
; Occupancy: 4
; WaveLimiterHint : 1
; COMPUTE_PGM_RSRC2:SCRATCH_EN: 1
; COMPUTE_PGM_RSRC2:USER_SGPR: 2
; COMPUTE_PGM_RSRC2:TRAP_HANDLER: 0
; COMPUTE_PGM_RSRC2:TGID_X_EN: 1
; COMPUTE_PGM_RSRC2:TGID_Y_EN: 0
; COMPUTE_PGM_RSRC2:TGID_Z_EN: 0
; COMPUTE_PGM_RSRC2:TIDIG_COMP_CNT: 1
; COMPUTE_PGM_RSRC3_GFX90A:ACCUM_OFFSET: 31
; COMPUTE_PGM_RSRC3_GFX90A:TG_SPLIT: 0
	.section	.text._Z17wvSplitKQ_hf_sml_I6__halfN3c1015Float8_e4m3fnuzELi64ELi2ELi16ELi16ELi2ELi1EEviiiPKT0_S5_PT_PKfS9_ii,"axG",@progbits,_Z17wvSplitKQ_hf_sml_I6__halfN3c1015Float8_e4m3fnuzELi64ELi2ELi16ELi16ELi2ELi1EEviiiPKT0_S5_PT_PKfS9_ii,comdat
	.protected	_Z17wvSplitKQ_hf_sml_I6__halfN3c1015Float8_e4m3fnuzELi64ELi2ELi16ELi16ELi2ELi1EEviiiPKT0_S5_PT_PKfS9_ii ; -- Begin function _Z17wvSplitKQ_hf_sml_I6__halfN3c1015Float8_e4m3fnuzELi64ELi2ELi16ELi16ELi2ELi1EEviiiPKT0_S5_PT_PKfS9_ii
	.globl	_Z17wvSplitKQ_hf_sml_I6__halfN3c1015Float8_e4m3fnuzELi64ELi2ELi16ELi16ELi2ELi1EEviiiPKT0_S5_PT_PKfS9_ii
	.p2align	8
	.type	_Z17wvSplitKQ_hf_sml_I6__halfN3c1015Float8_e4m3fnuzELi64ELi2ELi16ELi16ELi2ELi1EEviiiPKT0_S5_PT_PKfS9_ii,@function
_Z17wvSplitKQ_hf_sml_I6__halfN3c1015Float8_e4m3fnuzELi64ELi2ELi16ELi16ELi2ELi1EEviiiPKT0_S5_PT_PKfS9_ii: ; @_Z17wvSplitKQ_hf_sml_I6__halfN3c1015Float8_e4m3fnuzELi64ELi2ELi16ELi16ELi2ELi1EEviiiPKT0_S5_PT_PKfS9_ii
; %bb.0:
	s_load_dwordx4 s[8:11], s[0:1], 0x0
	s_load_dwordx4 s[4:7], s[0:1], 0x28
	v_bfe_u32 v1, v0, 10, 10
	v_and_b32_e32 v0, 0x3ff, v0
	v_lshlrev_b32_e32 v60, 4, v0
	v_lshl_add_u32 v2, v1, 10, v60
	s_waitcnt lgkmcnt(0)
	s_min_i32 s3, s8, 0x10000
	v_cmp_gt_u32_e32 vcc, s3, v2
	s_and_saveexec_b64 s[12:13], vcc
	s_cbranch_execz .LBB40_3
; %bb.1:
	s_load_dwordx2 s[14:15], s[0:1], 0x18
	s_mov_b64 s[16:17], 0
.LBB40_2:                               ; =>This Inner Loop Header: Depth=1
	s_waitcnt lgkmcnt(0)
	global_load_dwordx4 v[4:7], v2, s[14:15]
	s_waitcnt vmcnt(0)
	ds_write_b128 v2, v[4:7]
	v_add_u32_e32 v2, 0x4000, v2
	v_cmp_le_u32_e32 vcc, s3, v2
	s_or_b64 s[16:17], vcc, s[16:17]
	s_andn2_b64 exec, exec, s[16:17]
	s_cbranch_execnz .LBB40_2
.LBB40_3:
	s_or_b64 exec, exec, s[12:13]
	s_load_dwordx2 s[16:17], s[0:1], 0x38
	s_waitcnt lgkmcnt(0)
	s_barrier
	v_cmp_gt_u32_e32 vcc, s16, v1
	s_and_saveexec_b64 s[12:13], vcc
	s_cbranch_execz .LBB40_22
; %bb.4:
	s_mul_i32 s2, s2, s16
	v_add_lshl_u32 v56, s2, v1, 1
	v_cmp_gt_u32_e32 vcc, s10, v56
	s_and_b64 exec, exec, vcc
	s_cbranch_execz .LBB40_22
; %bb.5:
	s_load_dword s11, s[4:5], 0x0
	s_load_dword s22, s[6:7], 0x0
	s_load_dwordx2 s[12:13], s[0:1], 0x10
	s_load_dwordx2 s[14:15], s[0:1], 0x20
	s_cmp_lg_u32 s8, 0
	s_cselect_b64 s[2:3], -1, 0
	v_cmp_eq_u32_e64 s[0:1], 0, v0
	v_cndmask_b32_e64 v0, 0, 1, s[2:3]
	v_cmp_ne_u32_e64 s[2:3], 1, v0
	v_mbcnt_lo_u32_b32 v0, -1, 0
	v_mbcnt_hi_u32_b32 v0, -1, v0
	s_mul_i32 s4, s16, s17
	v_lshlrev_b32_e32 v0, 2, v0
	s_mov_b32 s7, 0
	s_lshl_b32 s23, s4, 1
	s_mov_b32 s6, s9
	s_mov_b64 s[16:17], 0
	v_mov_b32_e32 v59, 0
	v_and_b32_e32 v61, 0x100, v0
	s_branch .LBB40_7
.LBB40_6:                               ;   in Loop: Header=BB40_7 Depth=1
	s_or_b64 exec, exec, s[4:5]
	v_add_u32_e32 v56, s23, v56
	v_cmp_le_u32_e32 vcc, s10, v56
	s_or_b64 s[16:17], vcc, s[16:17]
	s_andn2_b64 exec, exec, s[16:17]
	s_cbranch_execz .LBB40_22
.LBB40_7:                               ; =>This Loop Header: Depth=1
                                        ;     Child Loop BB40_10 Depth 2
	s_and_b64 vcc, exec, s[2:3]
	v_mov_b32_e32 v31, v59
	v_mov_b32_e32 v30, v59
	;; [unrolled: 1-line block ×13, first 2 shown]
	s_waitcnt lgkmcnt(0)
	v_mov_b32_e32 v18, v59
	v_mov_b32_e32 v17, v59
	v_mov_b32_e32 v16, v59
	v_mov_b32_e32 v15, v59
	v_mov_b32_e32 v14, v59
	v_mov_b32_e32 v13, v59
	v_mov_b32_e32 v12, v59
	v_mov_b32_e32 v11, v59
	v_mov_b32_e32 v10, v59
	v_mov_b32_e32 v9, v59
	v_mov_b32_e32 v8, v59
	v_mov_b32_e32 v7, v59
	v_mov_b32_e32 v6, v59
	v_mov_b32_e32 v5, v59
	v_mov_b32_e32 v4, v59
	v_mov_b32_e32 v3, v59
	v_mov_b32_e32 v2, v59
	v_mov_b32_e32 v1, v59
	v_mov_b32_e32 v0, v59
	s_cbranch_vccnz .LBB40_20
; %bb.8:                                ;   in Loop: Header=BB40_7 Depth=1
	v_mov_b32_e32 v0, 0
	v_mul_lo_u32 v57, v56, s9
	s_mov_b32 s24, 0
	v_mov_b32_e32 v1, v0
	v_mov_b32_e32 v2, v0
	;; [unrolled: 1-line block ×31, first 2 shown]
	s_branch .LBB40_10
.LBB40_9:                               ;   in Loop: Header=BB40_10 Depth=2
	s_addk_i32 s24, 0x800
	s_cmp_ge_u32 s24, s8
	s_cbranch_scc1 .LBB40_20
.LBB40_10:                              ;   Parent Loop BB40_7 Depth=1
                                        ; =>  This Inner Loop Header: Depth=2
	v_add_u32_e32 v62, s24, v60
	v_mov_b64_e32 v[32:33], 0
	v_cmp_gt_u32_e32 vcc, s8, v62
	v_add_u32_e32 v63, 0x400, v62
	v_mov_b64_e32 v[40:41], v[32:33]
	v_mov_b64_e32 v[42:43], v[32:33]
	;; [unrolled: 1-line block ×8, first 2 shown]
	s_and_saveexec_b64 s[18:19], vcc
	s_cbranch_execz .LBB40_14
; %bb.11:                               ;   in Loop: Header=BB40_10 Depth=2
	v_add_u32_e32 v58, v62, v57
	s_waitcnt lgkmcnt(0)
	v_lshl_add_u64 v[34:35], s[12:13], 0, v[58:59]
	v_lshl_add_u64 v[34:35], v[34:35], 0, s[6:7]
	global_load_dwordx4 v[48:51], v58, s[12:13] nt
	global_load_dwordx4 v[36:39], v[34:35], off nt
	v_mov_b64_e32 v[46:47], 0
	v_cmp_gt_u32_e64 s[4:5], s8, v63
	v_mov_b64_e32 v[44:45], v[46:47]
	v_mov_b64_e32 v[42:43], v[46:47]
	;; [unrolled: 1-line block ×3, first 2 shown]
	s_and_saveexec_b64 s[20:21], s[4:5]
	s_cbranch_execz .LBB40_13
; %bb.12:                               ;   in Loop: Header=BB40_10 Depth=2
	v_add_u32_e32 v58, v63, v57
	v_lshl_add_u64 v[34:35], s[12:13], 0, v[58:59]
	v_lshl_add_u64 v[34:35], v[34:35], 0, s[6:7]
	global_load_dwordx4 v[44:47], v58, s[12:13] nt
	global_load_dwordx4 v[40:43], v[34:35], off nt
.LBB40_13:                              ;   in Loop: Header=BB40_10 Depth=2
	s_or_b64 exec, exec, s[20:21]
.LBB40_14:                              ;   in Loop: Header=BB40_10 Depth=2
	s_or_b64 exec, exec, s[18:19]
	v_mov_b64_e32 v[34:35], v[32:33]
	v_mov_b64_e32 v[52:53], v[32:33]
	;; [unrolled: 1-line block ×3, first 2 shown]
	s_and_saveexec_b64 s[4:5], vcc
	s_cbranch_execz .LBB40_18
; %bb.15:                               ;   in Loop: Header=BB40_10 Depth=2
	ds_read_b128 v[52:55], v62
	v_mov_b64_e32 v[34:35], 0
	v_cmp_gt_u32_e32 vcc, s8, v63
	v_mov_b64_e32 v[32:33], v[34:35]
	s_and_saveexec_b64 s[18:19], vcc
	s_cbranch_execz .LBB40_17
; %bb.16:                               ;   in Loop: Header=BB40_10 Depth=2
	ds_read_b128 v[32:35], v62 offset:1024
.LBB40_17:                              ;   in Loop: Header=BB40_10 Depth=2
	s_or_b64 exec, exec, s[18:19]
.LBB40_18:                              ;   in Loop: Header=BB40_10 Depth=2
	s_or_b64 exec, exec, s[4:5]
	s_waitcnt vmcnt(1) lgkmcnt(0)
	v_mfma_f32_32x32x16_fp8_fp8 v[16:31], v[52:53], v[48:49], v[16:31]
	s_or_b32 s4, s24, 0x400
	s_cmp_ge_u32 s4, s8
	s_waitcnt vmcnt(0)
	v_mfma_f32_32x32x16_fp8_fp8 v[0:15], v[52:53], v[36:37], v[0:15]
	v_mfma_f32_32x32x16_fp8_fp8 v[16:31], v[54:55], v[50:51], v[16:31]
	;; [unrolled: 1-line block ×3, first 2 shown]
	s_cbranch_scc1 .LBB40_9
; %bb.19:                               ;   in Loop: Header=BB40_10 Depth=2
	v_mfma_f32_32x32x16_fp8_fp8 v[16:31], v[32:33], v[44:45], v[16:31]
	v_mfma_f32_32x32x16_fp8_fp8 v[0:15], v[32:33], v[40:41], v[0:15]
	;; [unrolled: 1-line block ×4, first 2 shown]
	s_branch .LBB40_9
.LBB40_20:                              ;   in Loop: Header=BB40_7 Depth=1
	;;#ASMSTART
	v_add_f32 v24, v25, v24 row_shl:1 bound_ctrl:0 
	;;#ASMEND
	;;#ASMSTART
	v_add_f32 v8, v9, v8 row_shl:1 bound_ctrl:0 
	;;#ASMEND
	;;#ASMSTART
	v_add_f32 v16, v17, v16 row_shl:1 bound_ctrl:0 
	;;#ASMEND
	;;#ASMSTART
	v_add_f32 v0, v1, v0 row_shl:1 bound_ctrl:0 
	;;#ASMEND
	s_nop 0
	;;#ASMSTART
	v_add_f32 v24, v26, v24 row_shl:2 bound_ctrl:0 
	;;#ASMEND
	;;#ASMSTART
	v_add_f32 v8, v10, v8 row_shl:2 bound_ctrl:0 
	;;#ASMEND
	;;#ASMSTART
	v_add_f32 v16, v18, v16 row_shl:2 bound_ctrl:0 
	;;#ASMEND
	;;#ASMSTART
	v_add_f32 v0, v2, v0 row_shl:2 bound_ctrl:0 
	;;#ASMEND
	s_nop 0
	;;#ASMSTART
	v_add_f32 v24, v27, v24 row_shl:3 bound_ctrl:0 
	;;#ASMEND
	;;#ASMSTART
	v_add_f32 v8, v11, v8 row_shl:3 bound_ctrl:0 
	;;#ASMEND
	;;#ASMSTART
	v_add_f32 v16, v19, v16 row_shl:3 bound_ctrl:0 
	;;#ASMEND
	;;#ASMSTART
	v_add_f32 v0, v3, v0 row_shl:3 bound_ctrl:0 
	;;#ASMEND
	s_nop 0
	;;#ASMSTART
	v_add_f32 v24, v28, v24 row_shl:8 bound_ctrl:0 
	;;#ASMEND
	;;#ASMSTART
	v_add_f32 v8, v12, v8 row_shl:8 bound_ctrl:0 
	;;#ASMEND
	;;#ASMSTART
	v_add_f32 v16, v20, v16 row_shl:8 bound_ctrl:0 
	;;#ASMEND
	;;#ASMSTART
	v_add_f32 v0, v4, v0 row_shl:8 bound_ctrl:0 
	;;#ASMEND
	s_nop 0
	;;#ASMSTART
	v_add_f32 v24, v29, v24 row_shl:9 bound_ctrl:0 
	;;#ASMEND
	;;#ASMSTART
	v_add_f32 v8, v13, v8 row_shl:9 bound_ctrl:0 
	;;#ASMEND
	;;#ASMSTART
	v_add_f32 v16, v21, v16 row_shl:9 bound_ctrl:0 
	;;#ASMEND
	;;#ASMSTART
	v_add_f32 v0, v5, v0 row_shl:9 bound_ctrl:0 
	;;#ASMEND
	s_nop 0
	;;#ASMSTART
	v_add_f32 v24, v30, v24 row_shl:10 bound_ctrl:0 
	;;#ASMEND
	;;#ASMSTART
	v_add_f32 v8, v14, v8 row_shl:10 bound_ctrl:0 
	;;#ASMEND
	;;#ASMSTART
	v_add_f32 v16, v22, v16 row_shl:10 bound_ctrl:0 
	;;#ASMEND
	;;#ASMSTART
	v_add_f32 v0, v6, v0 row_shl:10 bound_ctrl:0 
	;;#ASMEND
	s_nop 0
	;;#ASMSTART
	v_add_f32 v24, v31, v24 row_shl:11 bound_ctrl:0 
	;;#ASMEND
	ds_bpermute_b32 v18, v61, v24 offset:208
	;;#ASMSTART
	v_add_f32 v8, v15, v8 row_shl:11 bound_ctrl:0 
	;;#ASMEND
	ds_bpermute_b32 v2, v61, v8 offset:208
	;; [unrolled: 4-line block ×3, first 2 shown]
	s_waitcnt lgkmcnt(0)
	v_add_f32_e32 v18, v24, v18
	ds_bpermute_b32 v18, v61, v18 offset:64
	v_add_f32_e32 v2, v8, v2
	;;#ASMSTART
	v_add_f32 v0, v7, v0 row_shl:11 bound_ctrl:0 
	;;#ASMEND
	ds_bpermute_b32 v1, v61, v0 offset:144
	ds_bpermute_b32 v2, v61, v2 offset:64
	s_and_saveexec_b64 s[4:5], s[0:1]
	s_cbranch_execz .LBB40_6
; %bb.21:                               ;   in Loop: Header=BB40_7 Depth=1
	s_waitcnt lgkmcnt(1)
	v_add_f32_e32 v0, v0, v1
	s_waitcnt lgkmcnt(0)
	v_add_f32_e32 v2, v0, v2
	v_add_f32_e32 v0, v16, v17
	;; [unrolled: 1-line block ×3, first 2 shown]
	v_mul_f32_e32 v0, s11, v0
	v_fma_mixlo_f16 v3, s22, v0, 0
	v_mov_b32_e32 v57, v59
	v_mul_f32_e32 v2, s11, v2
	v_lshl_add_u64 v[0:1], v[56:57], 1, s[14:15]
	v_fma_mixhi_f16 v3, s22, v2, 0
	global_store_dword v[0:1], v3, off
	s_branch .LBB40_6
.LBB40_22:
	s_endpgm
	.section	.rodata,"a",@progbits
	.p2align	6, 0x0
	.amdhsa_kernel _Z17wvSplitKQ_hf_sml_I6__halfN3c1015Float8_e4m3fnuzELi64ELi2ELi16ELi16ELi2ELi1EEviiiPKT0_S5_PT_PKfS9_ii
		.amdhsa_group_segment_fixed_size 65536
		.amdhsa_private_segment_fixed_size 0
		.amdhsa_kernarg_size 64
		.amdhsa_user_sgpr_count 2
		.amdhsa_user_sgpr_dispatch_ptr 0
		.amdhsa_user_sgpr_queue_ptr 0
		.amdhsa_user_sgpr_kernarg_segment_ptr 1
		.amdhsa_user_sgpr_dispatch_id 0
		.amdhsa_user_sgpr_kernarg_preload_length 0
		.amdhsa_user_sgpr_kernarg_preload_offset 0
		.amdhsa_user_sgpr_private_segment_size 0
		.amdhsa_uses_dynamic_stack 0
		.amdhsa_enable_private_segment 0
		.amdhsa_system_sgpr_workgroup_id_x 1
		.amdhsa_system_sgpr_workgroup_id_y 0
		.amdhsa_system_sgpr_workgroup_id_z 0
		.amdhsa_system_sgpr_workgroup_info 0
		.amdhsa_system_vgpr_workitem_id 1
		.amdhsa_next_free_vgpr 64
		.amdhsa_next_free_sgpr 25
		.amdhsa_accum_offset 64
		.amdhsa_reserve_vcc 1
		.amdhsa_float_round_mode_32 0
		.amdhsa_float_round_mode_16_64 0
		.amdhsa_float_denorm_mode_32 3
		.amdhsa_float_denorm_mode_16_64 3
		.amdhsa_dx10_clamp 1
		.amdhsa_ieee_mode 1
		.amdhsa_fp16_overflow 0
		.amdhsa_tg_split 0
		.amdhsa_exception_fp_ieee_invalid_op 0
		.amdhsa_exception_fp_denorm_src 0
		.amdhsa_exception_fp_ieee_div_zero 0
		.amdhsa_exception_fp_ieee_overflow 0
		.amdhsa_exception_fp_ieee_underflow 0
		.amdhsa_exception_fp_ieee_inexact 0
		.amdhsa_exception_int_div_zero 0
	.end_amdhsa_kernel
	.section	.text._Z17wvSplitKQ_hf_sml_I6__halfN3c1015Float8_e4m3fnuzELi64ELi2ELi16ELi16ELi2ELi1EEviiiPKT0_S5_PT_PKfS9_ii,"axG",@progbits,_Z17wvSplitKQ_hf_sml_I6__halfN3c1015Float8_e4m3fnuzELi64ELi2ELi16ELi16ELi2ELi1EEviiiPKT0_S5_PT_PKfS9_ii,comdat
.Lfunc_end40:
	.size	_Z17wvSplitKQ_hf_sml_I6__halfN3c1015Float8_e4m3fnuzELi64ELi2ELi16ELi16ELi2ELi1EEviiiPKT0_S5_PT_PKfS9_ii, .Lfunc_end40-_Z17wvSplitKQ_hf_sml_I6__halfN3c1015Float8_e4m3fnuzELi64ELi2ELi16ELi16ELi2ELi1EEviiiPKT0_S5_PT_PKfS9_ii
                                        ; -- End function
	.section	.AMDGPU.csdata,"",@progbits
; Kernel info:
; codeLenInByte = 1348
; NumSgprs: 31
; NumVgprs: 64
; NumAgprs: 0
; TotalNumVgprs: 64
; ScratchSize: 0
; MemoryBound: 1
; FloatMode: 240
; IeeeMode: 1
; LDSByteSize: 65536 bytes/workgroup (compile time only)
; SGPRBlocks: 3
; VGPRBlocks: 7
; NumSGPRsForWavesPerEU: 31
; NumVGPRsForWavesPerEU: 64
; AccumOffset: 64
; Occupancy: 4
; WaveLimiterHint : 0
; COMPUTE_PGM_RSRC2:SCRATCH_EN: 0
; COMPUTE_PGM_RSRC2:USER_SGPR: 2
; COMPUTE_PGM_RSRC2:TRAP_HANDLER: 0
; COMPUTE_PGM_RSRC2:TGID_X_EN: 1
; COMPUTE_PGM_RSRC2:TGID_Y_EN: 0
; COMPUTE_PGM_RSRC2:TGID_Z_EN: 0
; COMPUTE_PGM_RSRC2:TIDIG_COMP_CNT: 1
; COMPUTE_PGM_RSRC3_GFX90A:ACCUM_OFFSET: 15
; COMPUTE_PGM_RSRC3_GFX90A:TG_SPLIT: 0
	.section	.text._Z13wvSplitKQ_hf_I6__halfN3c1015Float8_e4m3fnuzELi64ELi2ELi16ELi16ELi2ELi1EEviiiPKT0_S5_PT_PKfS9_ii,"axG",@progbits,_Z13wvSplitKQ_hf_I6__halfN3c1015Float8_e4m3fnuzELi64ELi2ELi16ELi16ELi2ELi1EEviiiPKT0_S5_PT_PKfS9_ii,comdat
	.protected	_Z13wvSplitKQ_hf_I6__halfN3c1015Float8_e4m3fnuzELi64ELi2ELi16ELi16ELi2ELi1EEviiiPKT0_S5_PT_PKfS9_ii ; -- Begin function _Z13wvSplitKQ_hf_I6__halfN3c1015Float8_e4m3fnuzELi64ELi2ELi16ELi16ELi2ELi1EEviiiPKT0_S5_PT_PKfS9_ii
	.globl	_Z13wvSplitKQ_hf_I6__halfN3c1015Float8_e4m3fnuzELi64ELi2ELi16ELi16ELi2ELi1EEviiiPKT0_S5_PT_PKfS9_ii
	.p2align	8
	.type	_Z13wvSplitKQ_hf_I6__halfN3c1015Float8_e4m3fnuzELi64ELi2ELi16ELi16ELi2ELi1EEviiiPKT0_S5_PT_PKfS9_ii,@function
_Z13wvSplitKQ_hf_I6__halfN3c1015Float8_e4m3fnuzELi64ELi2ELi16ELi16ELi2ELi1EEviiiPKT0_S5_PT_PKfS9_ii: ; @_Z13wvSplitKQ_hf_I6__halfN3c1015Float8_e4m3fnuzELi64ELi2ELi16ELi16ELi2ELi1EEviiiPKT0_S5_PT_PKfS9_ii
; %bb.0:
	s_load_dwordx4 s[12:15], s[0:1], 0x0
	s_load_dwordx2 s[10:11], s[0:1], 0x18
	s_load_dwordx4 s[4:7], s[0:1], 0x28
	v_bfe_u32 v1, v0, 10, 10
	v_and_b32_e32 v0, 0x3ff, v0
	v_lshlrev_b32_e32 v60, 4, v0
	v_lshl_add_u32 v2, v1, 10, v60
	s_waitcnt lgkmcnt(0)
	s_min_i32 s3, s12, 0x10000
	v_cmp_gt_u32_e32 vcc, s3, v2
	s_and_saveexec_b64 s[8:9], vcc
	s_cbranch_execz .LBB41_3
; %bb.1:
	s_mov_b64 s[16:17], 0
.LBB41_2:                               ; =>This Inner Loop Header: Depth=1
	global_load_dwordx4 v[4:7], v2, s[10:11]
	s_waitcnt vmcnt(0)
	ds_write_b128 v2, v[4:7]
	v_add_u32_e32 v2, 0x4000, v2
	v_cmp_le_u32_e32 vcc, s3, v2
	s_or_b64 s[16:17], vcc, s[16:17]
	s_andn2_b64 exec, exec, s[16:17]
	s_cbranch_execnz .LBB41_2
.LBB41_3:
	s_or_b64 exec, exec, s[8:9]
	s_load_dwordx2 s[8:9], s[0:1], 0x38
	s_waitcnt lgkmcnt(0)
	s_barrier
	v_cmp_gt_u32_e32 vcc, s8, v1
	s_and_saveexec_b64 s[16:17], vcc
	s_cbranch_execz .LBB41_36
; %bb.4:
	s_mul_i32 s2, s2, s8
	v_add_lshl_u32 v56, s2, v1, 1
	v_cmp_gt_u32_e32 vcc, s14, v56
	s_and_b64 exec, exec, vcc
	s_cbranch_execz .LBB41_36
; %bb.5:
	s_load_dword s15, s[4:5], 0x0
	s_load_dword s28, s[6:7], 0x0
	s_load_dwordx2 s[16:17], s[0:1], 0x10
	s_load_dwordx2 s[18:19], s[0:1], 0x20
	s_cmp_lg_u32 s12, 0
	s_cselect_b64 s[2:3], -1, 0
	v_cmp_eq_u32_e64 s[0:1], 0, v0
	v_cndmask_b32_e64 v0, 0, 1, s[2:3]
	v_cmp_ne_u32_e64 s[2:3], 1, v0
	v_mbcnt_lo_u32_b32 v0, -1, 0
	v_mbcnt_hi_u32_b32 v0, -1, v0
	s_mul_i32 s4, s8, s9
	v_lshlrev_b32_e32 v0, 2, v0
	s_lshl_b32 s29, s4, 1
	s_ashr_i32 s21, s13, 31
	s_mov_b32 s20, s13
	s_mov_b64 s[22:23], 0
	v_mov_b32_e32 v59, 0
	s_mov_b32 s30, 0xffff
	v_and_b32_e32 v61, 0x100, v0
                                        ; implicit-def: $vgpr40_vgpr41_vgpr42_vgpr43
                                        ; implicit-def: $vgpr44_vgpr45_vgpr46_vgpr47
                                        ; implicit-def: $vgpr32_vgpr33_vgpr34_vgpr35
                                        ; implicit-def: $vgpr36_vgpr37_vgpr38_vgpr39
                                        ; implicit-def: $vgpr50_vgpr51
                                        ; implicit-def: $vgpr54_vgpr55
	s_branch .LBB41_7
.LBB41_6:                               ;   in Loop: Header=BB41_7 Depth=1
	s_or_b64 exec, exec, s[4:5]
	v_add_u32_e32 v56, s29, v56
	v_cmp_le_u32_e32 vcc, s14, v56
	s_or_b64 s[22:23], vcc, s[22:23]
	s_andn2_b64 exec, exec, s[22:23]
	s_cbranch_execz .LBB41_36
.LBB41_7:                               ; =>This Loop Header: Depth=1
                                        ;     Child Loop BB41_11 Depth 2
	v_or_b32_e32 v62, 1, v56
	s_and_b64 vcc, exec, s[2:3]
	v_cmp_gt_u32_e64 s[4:5], s14, v62
	s_cbranch_vccnz .LBB41_32
; %bb.8:                                ;   in Loop: Header=BB41_7 Depth=1
	v_mov_b32_e32 v0, 0
	v_mul_lo_u32 v57, v56, s13
	s_mov_b32 s31, 0
	s_waitcnt lgkmcnt(0)
	v_mov_b32_e32 v1, v0
	v_mov_b32_e32 v2, v0
	;; [unrolled: 1-line block ×31, first 2 shown]
	s_branch .LBB41_11
.LBB41_9:                               ;   in Loop: Header=BB41_11 Depth=2
	s_or_b64 exec, exec, s[8:9]
.LBB41_10:                              ;   in Loop: Header=BB41_11 Depth=2
	s_or_b64 exec, exec, s[6:7]
	s_addk_i32 s31, 0x800
	s_cmp_ge_u32 s31, s12
	s_cbranch_scc1 .LBB41_33
.LBB41_11:                              ;   Parent Loop BB41_7 Depth=1
                                        ; =>  This Inner Loop Header: Depth=2
	v_add_u32_e32 v63, s31, v60
	v_cmp_gt_u32_e32 vcc, s12, v63
	s_and_saveexec_b64 s[24:25], vcc
	s_cbranch_execz .LBB41_29
; %bb.12:                               ;   in Loop: Header=BB41_11 Depth=2
	v_add_u32_e32 v58, v63, v57
	s_waitcnt lgkmcnt(0)
	global_load_dwordx4 v[36:39], v58, s[16:17] nt
	s_and_saveexec_b64 s[6:7], s[4:5]
	s_cbranch_execz .LBB41_14
; %bb.13:                               ;   in Loop: Header=BB41_11 Depth=2
	s_waitcnt vmcnt(1)
	v_lshl_add_u64 v[44:45], s[16:17], 0, v[58:59]
	v_lshl_add_u64 v[44:45], v[44:45], 0, s[20:21]
	global_load_dwordx4 v[44:47], v[44:45], off nt
.LBB41_14:                              ;   in Loop: Header=BB41_11 Depth=2
	s_or_b64 exec, exec, s[6:7]
	v_add_u32_e32 v64, 0x400, v63
	v_cmp_gt_u32_e64 s[6:7], s12, v64
	s_and_saveexec_b64 s[8:9], s[6:7]
	s_cbranch_execz .LBB41_18
; %bb.15:                               ;   in Loop: Header=BB41_11 Depth=2
	v_add_u32_e32 v58, v64, v57
	global_load_dwordx4 v[32:35], v58, s[16:17] nt
	s_and_saveexec_b64 s[26:27], s[4:5]
	s_cbranch_execz .LBB41_17
; %bb.16:                               ;   in Loop: Header=BB41_11 Depth=2
	s_waitcnt vmcnt(2)
	v_lshl_add_u64 v[40:41], s[16:17], 0, v[58:59]
	v_lshl_add_u64 v[40:41], v[40:41], 0, s[20:21]
	global_load_dwordx4 v[40:43], v[40:41], off nt
.LBB41_17:                              ;   in Loop: Header=BB41_11 Depth=2
	s_or_b64 exec, exec, s[26:27]
.LBB41_18:                              ;   in Loop: Header=BB41_11 Depth=2
	s_or_b64 exec, exec, s[8:9]
	v_cmp_lt_u32_e64 s[8:9], s30, v63
                                        ; implicit-def: $vgpr52_vgpr53
	s_and_saveexec_b64 s[26:27], s[8:9]
	s_xor_b64 s[8:9], exec, s[26:27]
	s_cbranch_execnz .LBB41_21
; %bb.19:                               ;   in Loop: Header=BB41_11 Depth=2
	s_andn2_saveexec_b64 s[8:9], s[8:9]
	s_cbranch_execnz .LBB41_22
.LBB41_20:                              ;   in Loop: Header=BB41_11 Depth=2
	s_or_b64 exec, exec, s[8:9]
	s_and_saveexec_b64 s[8:9], s[6:7]
	s_cbranch_execnz .LBB41_23
	s_branch .LBB41_28
.LBB41_21:                              ;   in Loop: Header=BB41_11 Depth=2
	global_load_dwordx4 v[52:55], v63, s[10:11]
	s_andn2_saveexec_b64 s[8:9], s[8:9]
	s_cbranch_execz .LBB41_20
.LBB41_22:                              ;   in Loop: Header=BB41_11 Depth=2
	s_waitcnt vmcnt(0)
	ds_read_b128 v[52:55], v63
	s_or_b64 exec, exec, s[8:9]
	s_and_saveexec_b64 s[8:9], s[6:7]
	s_cbranch_execz .LBB41_28
.LBB41_23:                              ;   in Loop: Header=BB41_11 Depth=2
	v_cmp_lt_u32_e64 s[6:7], s30, v64
                                        ; implicit-def: $vgpr48_vgpr49
	s_and_saveexec_b64 s[26:27], s[6:7]
	s_xor_b64 s[6:7], exec, s[26:27]
	s_cbranch_execz .LBB41_25
; %bb.24:                               ;   in Loop: Header=BB41_11 Depth=2
	global_load_dwordx4 v[48:51], v64, s[10:11]
.LBB41_25:                              ;   in Loop: Header=BB41_11 Depth=2
	s_andn2_saveexec_b64 s[6:7], s[6:7]
	s_cbranch_execz .LBB41_27
; %bb.26:                               ;   in Loop: Header=BB41_11 Depth=2
	s_waitcnt vmcnt(0)
	ds_read_b128 v[48:51], v63 offset:1024
.LBB41_27:                              ;   in Loop: Header=BB41_11 Depth=2
	s_or_b64 exec, exec, s[6:7]
.LBB41_28:                              ;   in Loop: Header=BB41_11 Depth=2
	s_or_b64 exec, exec, s[8:9]
.LBB41_29:                              ;   in Loop: Header=BB41_11 Depth=2
	s_or_b64 exec, exec, s[24:25]
	s_and_saveexec_b64 s[6:7], vcc
	s_cbranch_execz .LBB41_10
; %bb.30:                               ;   in Loop: Header=BB41_11 Depth=2
	s_waitcnt vmcnt(0) lgkmcnt(0)
	v_mfma_f32_32x32x16_fp8_fp8 v[16:31], v[52:53], v[36:37], v[16:31]
	v_add_u32_e32 v58, 0x400, v63
	v_cmp_gt_u32_e32 vcc, s12, v58
	v_mfma_f32_32x32x16_fp8_fp8 v[0:15], v[52:53], v[44:45], v[0:15]
	v_mfma_f32_32x32x16_fp8_fp8 v[16:31], v[54:55], v[38:39], v[16:31]
	;; [unrolled: 1-line block ×3, first 2 shown]
	s_and_saveexec_b64 s[8:9], vcc
	s_cbranch_execz .LBB41_9
; %bb.31:                               ;   in Loop: Header=BB41_11 Depth=2
	v_mfma_f32_32x32x16_fp8_fp8 v[16:31], v[48:49], v[32:33], v[16:31]
	v_mfma_f32_32x32x16_fp8_fp8 v[0:15], v[48:49], v[40:41], v[0:15]
	;; [unrolled: 1-line block ×4, first 2 shown]
	s_branch .LBB41_9
.LBB41_32:                              ;   in Loop: Header=BB41_7 Depth=1
	v_mov_b32_e32 v31, v59
	v_mov_b32_e32 v30, v59
	;; [unrolled: 1-line block ×13, first 2 shown]
	s_waitcnt lgkmcnt(0)
	v_mov_b32_e32 v18, v59
	v_mov_b32_e32 v17, v59
	;; [unrolled: 1-line block ×19, first 2 shown]
.LBB41_33:                              ;   in Loop: Header=BB41_7 Depth=1
	;;#ASMSTART
	v_add_f32 v24, v25, v24 row_shl:1 bound_ctrl:0 
	;;#ASMEND
	;;#ASMSTART
	v_add_f32 v8, v9, v8 row_shl:1 bound_ctrl:0 
	;;#ASMEND
	;;#ASMSTART
	v_add_f32 v16, v17, v16 row_shl:1 bound_ctrl:0 
	;;#ASMEND
	;;#ASMSTART
	v_add_f32 v0, v1, v0 row_shl:1 bound_ctrl:0 
	;;#ASMEND
	s_nop 0
	;;#ASMSTART
	v_add_f32 v24, v26, v24 row_shl:2 bound_ctrl:0 
	;;#ASMEND
	;;#ASMSTART
	v_add_f32 v8, v10, v8 row_shl:2 bound_ctrl:0 
	;;#ASMEND
	;;#ASMSTART
	v_add_f32 v16, v18, v16 row_shl:2 bound_ctrl:0 
	;;#ASMEND
	;;#ASMSTART
	v_add_f32 v0, v2, v0 row_shl:2 bound_ctrl:0 
	;;#ASMEND
	s_nop 0
	;; [unrolled: 13-line block ×6, first 2 shown]
	;;#ASMSTART
	v_add_f32 v24, v31, v24 row_shl:11 bound_ctrl:0 
	;;#ASMEND
	ds_bpermute_b32 v18, v61, v24 offset:208
	;;#ASMSTART
	v_add_f32 v8, v15, v8 row_shl:11 bound_ctrl:0 
	;;#ASMEND
	ds_bpermute_b32 v2, v61, v8 offset:208
	;; [unrolled: 4-line block ×3, first 2 shown]
	s_waitcnt lgkmcnt(0)
	v_add_f32_e32 v18, v24, v18
	ds_bpermute_b32 v18, v61, v18 offset:64
	v_add_f32_e32 v2, v8, v2
	;;#ASMSTART
	v_add_f32 v0, v7, v0 row_shl:11 bound_ctrl:0 
	;;#ASMEND
	ds_bpermute_b32 v1, v61, v0 offset:144
	ds_bpermute_b32 v4, v61, v2 offset:64
	s_and_saveexec_b64 s[4:5], s[0:1]
	s_cbranch_execz .LBB41_6
; %bb.34:                               ;   in Loop: Header=BB41_7 Depth=1
	v_add_f32_e32 v2, v16, v17
	s_waitcnt lgkmcnt(2)
	v_add_f32_e32 v2, v2, v18
	v_mul_f32_e32 v2, s15, v2
	v_mov_b32_e32 v57, v59
	v_fma_mixlo_f16 v5, s28, v2, 0
	v_lshl_add_u64 v[2:3], v[56:57], 1, s[18:19]
	v_cmp_gt_u32_e32 vcc, s14, v62
	global_store_short v[2:3], v5, off
	s_and_b64 exec, exec, vcc
	s_cbranch_execz .LBB41_6
; %bb.35:                               ;   in Loop: Header=BB41_7 Depth=1
	s_waitcnt lgkmcnt(1)
	v_add_f32_e32 v0, v0, v1
	s_waitcnt lgkmcnt(0)
	v_add_f32_e32 v0, v0, v4
	v_mul_f32_e32 v0, s15, v0
	v_fma_mixlo_f16 v0, s28, v0, 0
	global_store_short v[2:3], v0, off offset:2
	s_branch .LBB41_6
.LBB41_36:
	s_endpgm
	.section	.rodata,"a",@progbits
	.p2align	6, 0x0
	.amdhsa_kernel _Z13wvSplitKQ_hf_I6__halfN3c1015Float8_e4m3fnuzELi64ELi2ELi16ELi16ELi2ELi1EEviiiPKT0_S5_PT_PKfS9_ii
		.amdhsa_group_segment_fixed_size 65536
		.amdhsa_private_segment_fixed_size 0
		.amdhsa_kernarg_size 64
		.amdhsa_user_sgpr_count 2
		.amdhsa_user_sgpr_dispatch_ptr 0
		.amdhsa_user_sgpr_queue_ptr 0
		.amdhsa_user_sgpr_kernarg_segment_ptr 1
		.amdhsa_user_sgpr_dispatch_id 0
		.amdhsa_user_sgpr_kernarg_preload_length 0
		.amdhsa_user_sgpr_kernarg_preload_offset 0
		.amdhsa_user_sgpr_private_segment_size 0
		.amdhsa_uses_dynamic_stack 0
		.amdhsa_enable_private_segment 0
		.amdhsa_system_sgpr_workgroup_id_x 1
		.amdhsa_system_sgpr_workgroup_id_y 0
		.amdhsa_system_sgpr_workgroup_id_z 0
		.amdhsa_system_sgpr_workgroup_info 0
		.amdhsa_system_vgpr_workitem_id 1
		.amdhsa_next_free_vgpr 65
		.amdhsa_next_free_sgpr 32
		.amdhsa_accum_offset 68
		.amdhsa_reserve_vcc 1
		.amdhsa_float_round_mode_32 0
		.amdhsa_float_round_mode_16_64 0
		.amdhsa_float_denorm_mode_32 3
		.amdhsa_float_denorm_mode_16_64 3
		.amdhsa_dx10_clamp 1
		.amdhsa_ieee_mode 1
		.amdhsa_fp16_overflow 0
		.amdhsa_tg_split 0
		.amdhsa_exception_fp_ieee_invalid_op 0
		.amdhsa_exception_fp_denorm_src 0
		.amdhsa_exception_fp_ieee_div_zero 0
		.amdhsa_exception_fp_ieee_overflow 0
		.amdhsa_exception_fp_ieee_underflow 0
		.amdhsa_exception_fp_ieee_inexact 0
		.amdhsa_exception_int_div_zero 0
	.end_amdhsa_kernel
	.section	.text._Z13wvSplitKQ_hf_I6__halfN3c1015Float8_e4m3fnuzELi64ELi2ELi16ELi16ELi2ELi1EEviiiPKT0_S5_PT_PKfS9_ii,"axG",@progbits,_Z13wvSplitKQ_hf_I6__halfN3c1015Float8_e4m3fnuzELi64ELi2ELi16ELi16ELi2ELi1EEviiiPKT0_S5_PT_PKfS9_ii,comdat
.Lfunc_end41:
	.size	_Z13wvSplitKQ_hf_I6__halfN3c1015Float8_e4m3fnuzELi64ELi2ELi16ELi16ELi2ELi1EEviiiPKT0_S5_PT_PKfS9_ii, .Lfunc_end41-_Z13wvSplitKQ_hf_I6__halfN3c1015Float8_e4m3fnuzELi64ELi2ELi16ELi16ELi2ELi1EEviiiPKT0_S5_PT_PKfS9_ii
                                        ; -- End function
	.section	.AMDGPU.csdata,"",@progbits
; Kernel info:
; codeLenInByte = 1464
; NumSgprs: 38
; NumVgprs: 65
; NumAgprs: 0
; TotalNumVgprs: 65
; ScratchSize: 0
; MemoryBound: 1
; FloatMode: 240
; IeeeMode: 1
; LDSByteSize: 65536 bytes/workgroup (compile time only)
; SGPRBlocks: 4
; VGPRBlocks: 8
; NumSGPRsForWavesPerEU: 38
; NumVGPRsForWavesPerEU: 65
; AccumOffset: 68
; Occupancy: 4
; WaveLimiterHint : 0
; COMPUTE_PGM_RSRC2:SCRATCH_EN: 0
; COMPUTE_PGM_RSRC2:USER_SGPR: 2
; COMPUTE_PGM_RSRC2:TRAP_HANDLER: 0
; COMPUTE_PGM_RSRC2:TGID_X_EN: 1
; COMPUTE_PGM_RSRC2:TGID_Y_EN: 0
; COMPUTE_PGM_RSRC2:TGID_Z_EN: 0
; COMPUTE_PGM_RSRC2:TIDIG_COMP_CNT: 1
; COMPUTE_PGM_RSRC3_GFX90A:ACCUM_OFFSET: 16
; COMPUTE_PGM_RSRC3_GFX90A:TG_SPLIT: 0
	.section	.text._Z17wvSplitKQ_hf_sml_I6__halfN3c1015Float8_e4m3fnuzELi64ELi2ELi16ELi16ELi2ELi2EEviiiPKT0_S5_PT_PKfS9_ii,"axG",@progbits,_Z17wvSplitKQ_hf_sml_I6__halfN3c1015Float8_e4m3fnuzELi64ELi2ELi16ELi16ELi2ELi2EEviiiPKT0_S5_PT_PKfS9_ii,comdat
	.protected	_Z17wvSplitKQ_hf_sml_I6__halfN3c1015Float8_e4m3fnuzELi64ELi2ELi16ELi16ELi2ELi2EEviiiPKT0_S5_PT_PKfS9_ii ; -- Begin function _Z17wvSplitKQ_hf_sml_I6__halfN3c1015Float8_e4m3fnuzELi64ELi2ELi16ELi16ELi2ELi2EEviiiPKT0_S5_PT_PKfS9_ii
	.globl	_Z17wvSplitKQ_hf_sml_I6__halfN3c1015Float8_e4m3fnuzELi64ELi2ELi16ELi16ELi2ELi2EEviiiPKT0_S5_PT_PKfS9_ii
	.p2align	8
	.type	_Z17wvSplitKQ_hf_sml_I6__halfN3c1015Float8_e4m3fnuzELi64ELi2ELi16ELi16ELi2ELi2EEviiiPKT0_S5_PT_PKfS9_ii,@function
_Z17wvSplitKQ_hf_sml_I6__halfN3c1015Float8_e4m3fnuzELi64ELi2ELi16ELi16ELi2ELi2EEviiiPKT0_S5_PT_PKfS9_ii: ; @_Z17wvSplitKQ_hf_sml_I6__halfN3c1015Float8_e4m3fnuzELi64ELi2ELi16ELi16ELi2ELi2EEviiiPKT0_S5_PT_PKfS9_ii
; %bb.0:
	s_load_dwordx4 s[8:11], s[0:1], 0x0
	s_load_dwordx4 s[4:7], s[0:1], 0x28
	v_bfe_u32 v1, v0, 10, 10
	v_and_b32_e32 v0, 0x3ff, v0
	v_lshlrev_b32_e32 v100, 4, v0
	s_waitcnt lgkmcnt(0)
	s_lshl_b32 s3, s8, 1
	v_lshl_add_u32 v2, v1, 10, v100
	s_min_i32 s3, s3, 0x10000
	v_cmp_gt_u32_e32 vcc, s3, v2
	s_and_saveexec_b64 s[12:13], vcc
	s_cbranch_execz .LBB42_3
; %bb.1:
	s_load_dwordx2 s[14:15], s[0:1], 0x18
	s_mov_b64 s[16:17], 0
.LBB42_2:                               ; =>This Inner Loop Header: Depth=1
	s_waitcnt lgkmcnt(0)
	global_load_dwordx4 v[4:7], v2, s[14:15]
	s_waitcnt vmcnt(0)
	ds_write_b128 v2, v[4:7]
	v_add_u32_e32 v2, 0x4000, v2
	v_cmp_le_u32_e32 vcc, s3, v2
	s_or_b64 s[16:17], vcc, s[16:17]
	s_andn2_b64 exec, exec, s[16:17]
	s_cbranch_execnz .LBB42_2
.LBB42_3:
	s_or_b64 exec, exec, s[12:13]
	s_load_dwordx2 s[16:17], s[0:1], 0x38
	s_waitcnt lgkmcnt(0)
	s_barrier
	v_cmp_gt_u32_e32 vcc, s16, v1
	s_and_saveexec_b64 s[12:13], vcc
	s_cbranch_execz .LBB42_23
; %bb.4:
	s_mul_i32 s2, s2, s16
	v_add_u32_e32 v1, s2, v1
	v_lshlrev_b32_e32 v96, 1, v1
	v_cmp_gt_u32_e32 vcc, s10, v96
	s_and_b64 exec, exec, vcc
	s_cbranch_execz .LBB42_23
; %bb.5:
	s_load_dword s11, s[4:5], 0x0
	s_load_dword s22, s[6:7], 0x0
	s_load_dwordx2 s[12:13], s[0:1], 0x10
	s_load_dwordx2 s[14:15], s[0:1], 0x20
	s_cmp_lg_u32 s8, 0
	v_cmp_eq_u32_e64 s[0:1], 0, v0
	s_cselect_b64 s[2:3], -1, 0
	v_mul_lo_u32 v0, s9, v1
	v_lshl_add_u32 v102, v0, 1, v100
	v_cndmask_b32_e64 v0, 0, 1, s[2:3]
	v_cmp_ne_u32_e64 s[2:3], 1, v0
	v_mbcnt_lo_u32_b32 v0, -1, 0
	s_mul_i32 s4, s16, s17
	v_mbcnt_hi_u32_b32 v0, -1, v0
	s_lshl_b32 s23, s4, 1
	s_mul_i32 s4, s4, s9
	v_lshlrev_b32_e32 v0, 2, v0
	s_mov_b32 s7, 0
	s_mov_b32 s6, s9
	v_add_u32_e32 v101, s8, v100
	s_lshl_b32 s9, s4, 1
	s_mov_b64 s[16:17], 0
	v_mov_b32_e32 v99, 0
	v_and_b32_e32 v103, 0x100, v0
	s_branch .LBB42_7
.LBB42_6:                               ;   in Loop: Header=BB42_7 Depth=1
	s_or_b64 exec, exec, s[4:5]
	v_add_u32_e32 v96, s23, v96
	v_cmp_le_u32_e32 vcc, s10, v96
	s_or_b64 s[16:17], vcc, s[16:17]
	v_add_u32_e32 v102, s9, v102
	s_andn2_b64 exec, exec, s[16:17]
	s_cbranch_execz .LBB42_23
.LBB42_7:                               ; =>This Loop Header: Depth=1
                                        ;     Child Loop BB42_9 Depth 2
	s_and_b64 vcc, exec, s[2:3]
	v_mov_b32_e32 v15, v99
	v_mov_b32_e32 v14, v99
	v_mov_b32_e32 v13, v99
	v_mov_b32_e32 v12, v99
	v_mov_b32_e32 v11, v99
	v_mov_b32_e32 v10, v99
	v_mov_b32_e32 v9, v99
	s_waitcnt lgkmcnt(0)
	v_mov_b32_e32 v8, v99
	v_mov_b32_e32 v7, v99
	;; [unrolled: 1-line block ×57, first 2 shown]
	s_cbranch_vccnz .LBB42_21
; %bb.8:                                ;   in Loop: Header=BB42_7 Depth=1
	v_mov_b32_e32 v32, 0
	s_movk_i32 s24, 0x400
	v_mov_b32_e32 v33, v32
	v_mov_b32_e32 v34, v32
	;; [unrolled: 1-line block ×63, first 2 shown]
.LBB42_9:                               ;   Parent Loop BB42_7 Depth=1
                                        ; =>  This Inner Loop Header: Depth=2
	v_add_u32_e32 v97, s24, v100
	v_add_u32_e32 v104, 0xfffffc00, v97
	v_mov_b64_e32 v[64:65], 0
	v_cmp_gt_u32_e32 vcc, s8, v104
	v_mov_b64_e32 v[68:69], v[64:65]
	v_mov_b64_e32 v[70:71], v[64:65]
	;; [unrolled: 1-line block ×8, first 2 shown]
	s_and_saveexec_b64 s[18:19], vcc
	s_cbranch_execz .LBB42_13
; %bb.10:                               ;   in Loop: Header=BB42_9 Depth=2
	v_add_u32_e32 v66, s24, v102
	v_add_u32_e32 v98, 0xfffffc00, v66
	s_waitcnt lgkmcnt(0)
	v_lshl_add_u64 v[68:69], s[12:13], 0, v[98:99]
	v_lshl_add_u64 v[68:69], v[68:69], 0, s[6:7]
	global_load_dwordx4 v[80:83], v98, s[12:13] nt
	global_load_dwordx4 v[76:79], v[68:69], off nt
	v_mov_b64_e32 v[74:75], 0
	v_cmp_gt_u32_e64 s[4:5], s8, v97
	v_mov_b64_e32 v[72:73], v[74:75]
	v_mov_b64_e32 v[70:71], v[74:75]
	;; [unrolled: 1-line block ×3, first 2 shown]
	s_and_saveexec_b64 s[20:21], s[4:5]
	s_cbranch_execz .LBB42_12
; %bb.11:                               ;   in Loop: Header=BB42_9 Depth=2
	v_mov_b32_e32 v67, v99
	v_lshl_add_u64 v[68:69], s[12:13], 0, v[66:67]
	v_lshl_add_u64 v[68:69], v[68:69], 0, s[6:7]
	global_load_dwordx4 v[72:75], v66, s[12:13] nt
	s_nop 0
	global_load_dwordx4 v[68:71], v[68:69], off nt
.LBB42_12:                              ;   in Loop: Header=BB42_9 Depth=2
	s_or_b64 exec, exec, s[20:21]
.LBB42_13:                              ;   in Loop: Header=BB42_9 Depth=2
	s_or_b64 exec, exec, s[18:19]
	v_mov_b64_e32 v[66:67], v[64:65]
	v_mov_b64_e32 v[88:89], v[64:65]
	;; [unrolled: 1-line block ×7, first 2 shown]
	s_and_saveexec_b64 s[4:5], vcc
	s_cbranch_execz .LBB42_17
; %bb.14:                               ;   in Loop: Header=BB42_9 Depth=2
	v_add_u32_e32 v98, s24, v101
	v_add_u32_e32 v64, 0xfffffc00, v98
	ds_read_b128 v[92:95], v104
	ds_read_b128 v[88:91], v64
	v_mov_b64_e32 v[86:87], 0
	v_cmp_gt_u32_e32 vcc, s8, v97
	v_mov_b64_e32 v[84:85], v[86:87]
	v_mov_b64_e32 v[66:67], v[86:87]
	;; [unrolled: 1-line block ×3, first 2 shown]
	s_and_saveexec_b64 s[18:19], vcc
	s_cbranch_execz .LBB42_16
; %bb.15:                               ;   in Loop: Header=BB42_9 Depth=2
	ds_read_b128 v[84:87], v97
	ds_read_b128 v[64:67], v98
.LBB42_16:                              ;   in Loop: Header=BB42_9 Depth=2
	s_or_b64 exec, exec, s[18:19]
.LBB42_17:                              ;   in Loop: Header=BB42_9 Depth=2
	s_or_b64 exec, exec, s[4:5]
	s_waitcnt vmcnt(1) lgkmcnt(0)
	v_mfma_f32_32x32x16_fp8_fp8 v[0:15], v[92:93], v[80:81], v[0:15]
	s_cmp_ge_u32 s24, s8
	s_waitcnt vmcnt(0)
	v_mfma_f32_32x32x16_fp8_fp8 v[16:31], v[92:93], v[76:77], v[16:31]
	v_mfma_f32_32x32x16_fp8_fp8 v[48:63], v[88:89], v[80:81], v[48:63]
	;; [unrolled: 1-line block ×7, first 2 shown]
	s_cbranch_scc1 .LBB42_19
; %bb.18:                               ;   in Loop: Header=BB42_9 Depth=2
	v_mfma_f32_32x32x16_fp8_fp8 v[0:15], v[84:85], v[72:73], v[0:15]
	v_mfma_f32_32x32x16_fp8_fp8 v[16:31], v[84:85], v[68:69], v[16:31]
	;; [unrolled: 1-line block ×8, first 2 shown]
.LBB42_19:                              ;   in Loop: Header=BB42_9 Depth=2
	s_add_i32 s4, s24, 0x800
	s_add_i32 s5, s24, 0x400
	s_cmp_ge_u32 s5, s8
	s_cbranch_scc1 .LBB42_21
; %bb.20:                               ;   in Loop: Header=BB42_9 Depth=2
	s_mov_b32 s24, s4
	s_branch .LBB42_9
.LBB42_21:                              ;   in Loop: Header=BB42_7 Depth=1
	;;#ASMSTART
	v_add_f32 v8, v9, v8 row_shl:1 bound_ctrl:0 
	;;#ASMEND
	;;#ASMSTART
	v_add_f32 v0, v1, v0 row_shl:1 bound_ctrl:0 
	;;#ASMEND
	;;#ASMSTART
	v_add_f32 v24, v25, v24 row_shl:1 bound_ctrl:0 
	;;#ASMEND
	;;#ASMSTART
	v_add_f32 v56, v57, v56 row_shl:1 bound_ctrl:0 
	;;#ASMEND
	;;#ASMSTART
	v_add_f32 v40, v41, v40 row_shl:1 bound_ctrl:0 
	;;#ASMEND
	;;#ASMSTART
	v_add_f32 v16, v17, v16 row_shl:1 bound_ctrl:0 
	;;#ASMEND
	s_nop 0
	;;#ASMSTART
	v_add_f32 v8, v10, v8 row_shl:2 bound_ctrl:0 
	;;#ASMEND
	;;#ASMSTART
	v_add_f32 v0, v2, v0 row_shl:2 bound_ctrl:0 
	;;#ASMEND
	;;#ASMSTART
	v_add_f32 v24, v26, v24 row_shl:2 bound_ctrl:0 
	;;#ASMEND
	;;#ASMSTART
	v_add_f32 v56, v58, v56 row_shl:2 bound_ctrl:0 
	;;#ASMEND
	;;#ASMSTART
	v_add_f32 v40, v42, v40 row_shl:2 bound_ctrl:0 
	;;#ASMEND
	;;#ASMSTART
	v_add_f32 v48, v49, v48 row_shl:1 bound_ctrl:0 
	;;#ASMEND
	s_nop 0
	;; [unrolled: 19-line block ×6, first 2 shown]
	;;#ASMSTART
	v_add_f32 v8, v15, v8 row_shl:11 bound_ctrl:0 
	;;#ASMEND
	ds_bpermute_b32 v2, v103, v8 offset:208
	;;#ASMSTART
	v_add_f32 v24, v31, v24 row_shl:11 bound_ctrl:0 
	;;#ASMEND
	ds_bpermute_b32 v4, v103, v24 offset:208
	;; [unrolled: 4-line block ×3, first 2 shown]
	s_waitcnt lgkmcnt(0)
	v_add_f32_e32 v2, v8, v2
	;;#ASMSTART
	v_add_f32 v40, v47, v40 row_shl:11 bound_ctrl:0 
	;;#ASMEND
	ds_bpermute_b32 v8, v103, v40 offset:208
	;;#ASMSTART
	v_add_f32 v16, v19, v16 row_shl:3 bound_ctrl:0 
	;;#ASMEND
	;;#ASMSTART
	v_add_f32 v48, v51, v48 row_shl:3 bound_ctrl:0 
	;;#ASMEND
	;; [unrolled: 3-line block ×3, first 2 shown]
	v_add_f32_e32 v4, v24, v4
	;;#ASMSTART
	v_add_f32 v16, v20, v16 row_shl:8 bound_ctrl:0 
	;;#ASMEND
	;;#ASMSTART
	v_add_f32 v48, v52, v48 row_shl:8 bound_ctrl:0 
	;;#ASMEND
	;; [unrolled: 3-line block ×3, first 2 shown]
	v_add_f32_e32 v6, v56, v6
	;;#ASMSTART
	v_add_f32 v16, v21, v16 row_shl:9 bound_ctrl:0 
	;;#ASMEND
	;;#ASMSTART
	v_add_f32 v48, v53, v48 row_shl:9 bound_ctrl:0 
	;;#ASMEND
	;; [unrolled: 3-line block ×3, first 2 shown]
	s_waitcnt lgkmcnt(0)
	v_add_f32_e32 v8, v40, v8
	;;#ASMSTART
	v_add_f32 v16, v22, v16 row_shl:10 bound_ctrl:0 
	;;#ASMEND
	;;#ASMSTART
	v_add_f32 v48, v54, v48 row_shl:10 bound_ctrl:0 
	;;#ASMEND
	;; [unrolled: 3-line block ×4, first 2 shown]
	ds_bpermute_b32 v1, v103, v0 offset:144
	ds_bpermute_b32 v2, v103, v2 offset:64
	;;#ASMSTART
	v_add_f32 v16, v23, v16 row_shl:11 bound_ctrl:0 
	;;#ASMEND
	ds_bpermute_b32 v3, v103, v16 offset:144
	ds_bpermute_b32 v4, v103, v4 offset:64
	;;#ASMSTART
	v_add_f32 v48, v55, v48 row_shl:11 bound_ctrl:0 
	;;#ASMEND
	;; [unrolled: 5-line block ×3, first 2 shown]
	ds_bpermute_b32 v7, v103, v32 offset:144
	ds_bpermute_b32 v8, v103, v8 offset:64
	s_and_saveexec_b64 s[4:5], s[0:1]
	s_cbranch_execz .LBB42_6
; %bb.22:                               ;   in Loop: Header=BB42_7 Depth=1
	s_waitcnt lgkmcnt(7)
	v_add_f32_e32 v0, v0, v1
	s_waitcnt lgkmcnt(5)
	v_add_f32_e32 v3, v16, v3
	v_add_f32_e32 v0, v0, v2
	s_waitcnt lgkmcnt(4)
	v_add_f32_e32 v3, v3, v4
	v_mul_f32_e32 v0, s11, v0
	s_waitcnt lgkmcnt(3)
	v_add_f32_e32 v5, v48, v5
	v_fma_mixlo_f16 v2, s22, v0, 0
	v_mov_b32_e32 v97, v99
	v_mul_f32_e32 v3, s11, v3
	s_waitcnt lgkmcnt(2)
	v_add_f32_e32 v5, v5, v6
	v_lshl_add_u64 v[0:1], v[96:97], 1, s[14:15]
	v_fma_mixhi_f16 v2, s22, v3, 0
	s_waitcnt lgkmcnt(1)
	v_add_f32_e32 v7, v32, v7
	global_store_dword v[0:1], v2, off
	v_add_u32_e32 v98, s10, v96
	v_mul_f32_e32 v0, s11, v5
	s_waitcnt lgkmcnt(0)
	v_add_f32_e32 v7, v7, v8
	v_fma_mixlo_f16 v2, s22, v0, 0
	v_lshl_add_u64 v[0:1], v[98:99], 1, s[14:15]
	global_store_short v[0:1], v2, off
	v_mul_f32_e32 v0, s11, v7
	v_add_u32_e32 v98, 1, v98
	v_fma_mixlo_f16 v2, s22, v0, 0
	v_lshl_add_u64 v[0:1], v[98:99], 1, s[14:15]
	global_store_short v[0:1], v2, off
	s_branch .LBB42_6
.LBB42_23:
	s_endpgm
	.section	.rodata,"a",@progbits
	.p2align	6, 0x0
	.amdhsa_kernel _Z17wvSplitKQ_hf_sml_I6__halfN3c1015Float8_e4m3fnuzELi64ELi2ELi16ELi16ELi2ELi2EEviiiPKT0_S5_PT_PKfS9_ii
		.amdhsa_group_segment_fixed_size 65536
		.amdhsa_private_segment_fixed_size 0
		.amdhsa_kernarg_size 64
		.amdhsa_user_sgpr_count 2
		.amdhsa_user_sgpr_dispatch_ptr 0
		.amdhsa_user_sgpr_queue_ptr 0
		.amdhsa_user_sgpr_kernarg_segment_ptr 1
		.amdhsa_user_sgpr_dispatch_id 0
		.amdhsa_user_sgpr_kernarg_preload_length 0
		.amdhsa_user_sgpr_kernarg_preload_offset 0
		.amdhsa_user_sgpr_private_segment_size 0
		.amdhsa_uses_dynamic_stack 0
		.amdhsa_enable_private_segment 0
		.amdhsa_system_sgpr_workgroup_id_x 1
		.amdhsa_system_sgpr_workgroup_id_y 0
		.amdhsa_system_sgpr_workgroup_id_z 0
		.amdhsa_system_sgpr_workgroup_info 0
		.amdhsa_system_vgpr_workitem_id 1
		.amdhsa_next_free_vgpr 105
		.amdhsa_next_free_sgpr 25
		.amdhsa_accum_offset 108
		.amdhsa_reserve_vcc 1
		.amdhsa_float_round_mode_32 0
		.amdhsa_float_round_mode_16_64 0
		.amdhsa_float_denorm_mode_32 3
		.amdhsa_float_denorm_mode_16_64 3
		.amdhsa_dx10_clamp 1
		.amdhsa_ieee_mode 1
		.amdhsa_fp16_overflow 0
		.amdhsa_tg_split 0
		.amdhsa_exception_fp_ieee_invalid_op 0
		.amdhsa_exception_fp_denorm_src 0
		.amdhsa_exception_fp_ieee_div_zero 0
		.amdhsa_exception_fp_ieee_overflow 0
		.amdhsa_exception_fp_ieee_underflow 0
		.amdhsa_exception_fp_ieee_inexact 0
		.amdhsa_exception_int_div_zero 0
	.end_amdhsa_kernel
	.section	.text._Z17wvSplitKQ_hf_sml_I6__halfN3c1015Float8_e4m3fnuzELi64ELi2ELi16ELi16ELi2ELi2EEviiiPKT0_S5_PT_PKfS9_ii,"axG",@progbits,_Z17wvSplitKQ_hf_sml_I6__halfN3c1015Float8_e4m3fnuzELi64ELi2ELi16ELi16ELi2ELi2EEviiiPKT0_S5_PT_PKfS9_ii,comdat
.Lfunc_end42:
	.size	_Z17wvSplitKQ_hf_sml_I6__halfN3c1015Float8_e4m3fnuzELi64ELi2ELi16ELi16ELi2ELi2EEviiiPKT0_S5_PT_PKfS9_ii, .Lfunc_end42-_Z17wvSplitKQ_hf_sml_I6__halfN3c1015Float8_e4m3fnuzELi64ELi2ELi16ELi16ELi2ELi2EEviiiPKT0_S5_PT_PKfS9_ii
                                        ; -- End function
	.section	.AMDGPU.csdata,"",@progbits
; Kernel info:
; codeLenInByte = 2148
; NumSgprs: 31
; NumVgprs: 105
; NumAgprs: 0
; TotalNumVgprs: 105
; ScratchSize: 0
; MemoryBound: 1
; FloatMode: 240
; IeeeMode: 1
; LDSByteSize: 65536 bytes/workgroup (compile time only)
; SGPRBlocks: 3
; VGPRBlocks: 13
; NumSGPRsForWavesPerEU: 31
; NumVGPRsForWavesPerEU: 105
; AccumOffset: 108
; Occupancy: 4
; WaveLimiterHint : 0
; COMPUTE_PGM_RSRC2:SCRATCH_EN: 0
; COMPUTE_PGM_RSRC2:USER_SGPR: 2
; COMPUTE_PGM_RSRC2:TRAP_HANDLER: 0
; COMPUTE_PGM_RSRC2:TGID_X_EN: 1
; COMPUTE_PGM_RSRC2:TGID_Y_EN: 0
; COMPUTE_PGM_RSRC2:TGID_Z_EN: 0
; COMPUTE_PGM_RSRC2:TIDIG_COMP_CNT: 1
; COMPUTE_PGM_RSRC3_GFX90A:ACCUM_OFFSET: 26
; COMPUTE_PGM_RSRC3_GFX90A:TG_SPLIT: 0
	.section	.text._Z13wvSplitKQ_hf_I6__halfN3c1015Float8_e4m3fnuzELi64ELi2ELi16ELi16ELi2ELi2EEviiiPKT0_S5_PT_PKfS9_ii,"axG",@progbits,_Z13wvSplitKQ_hf_I6__halfN3c1015Float8_e4m3fnuzELi64ELi2ELi16ELi16ELi2ELi2EEviiiPKT0_S5_PT_PKfS9_ii,comdat
	.protected	_Z13wvSplitKQ_hf_I6__halfN3c1015Float8_e4m3fnuzELi64ELi2ELi16ELi16ELi2ELi2EEviiiPKT0_S5_PT_PKfS9_ii ; -- Begin function _Z13wvSplitKQ_hf_I6__halfN3c1015Float8_e4m3fnuzELi64ELi2ELi16ELi16ELi2ELi2EEviiiPKT0_S5_PT_PKfS9_ii
	.globl	_Z13wvSplitKQ_hf_I6__halfN3c1015Float8_e4m3fnuzELi64ELi2ELi16ELi16ELi2ELi2EEviiiPKT0_S5_PT_PKfS9_ii
	.p2align	8
	.type	_Z13wvSplitKQ_hf_I6__halfN3c1015Float8_e4m3fnuzELi64ELi2ELi16ELi16ELi2ELi2EEviiiPKT0_S5_PT_PKfS9_ii,@function
_Z13wvSplitKQ_hf_I6__halfN3c1015Float8_e4m3fnuzELi64ELi2ELi16ELi16ELi2ELi2EEviiiPKT0_S5_PT_PKfS9_ii: ; @_Z13wvSplitKQ_hf_I6__halfN3c1015Float8_e4m3fnuzELi64ELi2ELi16ELi16ELi2ELi2EEviiiPKT0_S5_PT_PKfS9_ii
; %bb.0:
	s_load_dwordx4 s[12:15], s[0:1], 0x0
	s_load_dwordx2 s[10:11], s[0:1], 0x18
	s_load_dwordx4 s[4:7], s[0:1], 0x28
	v_bfe_u32 v1, v0, 10, 10
	v_and_b32_e32 v0, 0x3ff, v0
	v_lshlrev_b32_e32 v100, 4, v0
	s_waitcnt lgkmcnt(0)
	s_lshl_b32 s3, s12, 1
	v_lshl_add_u32 v2, v1, 10, v100
	s_min_i32 s3, s3, 0x10000
	v_cmp_gt_u32_e32 vcc, s3, v2
	s_and_saveexec_b64 s[8:9], vcc
	s_cbranch_execz .LBB43_3
; %bb.1:
	s_mov_b64 s[16:17], 0
.LBB43_2:                               ; =>This Inner Loop Header: Depth=1
	global_load_dwordx4 v[4:7], v2, s[10:11]
	s_waitcnt vmcnt(0)
	ds_write_b128 v2, v[4:7]
	v_add_u32_e32 v2, 0x4000, v2
	v_cmp_le_u32_e32 vcc, s3, v2
	s_or_b64 s[16:17], vcc, s[16:17]
	s_andn2_b64 exec, exec, s[16:17]
	s_cbranch_execnz .LBB43_2
.LBB43_3:
	s_or_b64 exec, exec, s[8:9]
	s_load_dwordx2 s[8:9], s[0:1], 0x38
	s_waitcnt lgkmcnt(0)
	s_barrier
	v_cmp_gt_u32_e32 vcc, s8, v1
	s_and_saveexec_b64 s[16:17], vcc
	s_cbranch_execz .LBB43_46
; %bb.4:
	s_mul_i32 s2, s2, s8
	v_add_u32_e32 v1, s2, v1
	v_lshlrev_b32_e32 v96, 1, v1
	v_cmp_gt_u32_e32 vcc, s14, v96
	s_and_b64 exec, exec, vcc
	s_cbranch_execz .LBB43_46
; %bb.5:
	s_load_dword s15, s[4:5], 0x0
	s_load_dword s28, s[6:7], 0x0
	s_load_dwordx2 s[16:17], s[0:1], 0x10
	s_load_dwordx2 s[18:19], s[0:1], 0x20
	s_cmp_lg_u32 s12, 0
	v_cmp_eq_u32_e64 s[0:1], 0, v0
	s_cselect_b64 s[2:3], -1, 0
	v_mul_lo_u32 v0, s13, v1
	v_lshl_add_u32 v102, v0, 1, v100
	v_cndmask_b32_e64 v0, 0, 1, s[2:3]
	v_cmp_ne_u32_e64 s[2:3], 1, v0
	v_mbcnt_lo_u32_b32 v0, -1, 0
	s_mul_i32 s4, s8, s9
	v_mbcnt_hi_u32_b32 v0, -1, v0
	s_lshl_b32 s29, s4, 1
	s_mul_i32 s4, s4, s13
	v_lshlrev_b32_e32 v0, 2, v0
	s_ashr_i32 s21, s13, 31
	s_mov_b32 s20, s13
	v_add_u32_e32 v101, s12, v100
	s_lshl_b32 s13, s4, 1
	s_mov_b64 s[22:23], 0
	v_mov_b32_e32 v99, 0
	s_mov_b32 s30, 0xffff
	v_and_b32_e32 v103, 0x100, v0
                                        ; implicit-def: $vgpr68_vgpr69_vgpr70_vgpr71
                                        ; implicit-def: $vgpr76_vgpr77_vgpr78_vgpr79
                                        ; implicit-def: $vgpr64_vgpr65_vgpr66_vgpr67
                                        ; implicit-def: $vgpr72_vgpr73_vgpr74_vgpr75
                                        ; implicit-def: $vgpr90_vgpr91
                                        ; implicit-def: $vgpr94_vgpr95
                                        ; implicit-def: $vgpr82_vgpr83
                                        ; implicit-def: $vgpr86_vgpr87
	s_branch .LBB43_7
.LBB43_6:                               ;   in Loop: Header=BB43_7 Depth=1
	s_or_b64 exec, exec, s[4:5]
	v_add_u32_e32 v96, s29, v96
	v_cmp_le_u32_e32 vcc, s14, v96
	s_or_b64 s[22:23], vcc, s[22:23]
	v_add_u32_e32 v102, s13, v102
	s_andn2_b64 exec, exec, s[22:23]
	s_cbranch_execz .LBB43_46
.LBB43_7:                               ; =>This Loop Header: Depth=1
                                        ;     Child Loop BB43_11 Depth 2
	v_or_b32_e32 v104, 1, v96
	s_and_b64 vcc, exec, s[2:3]
	v_cmp_gt_u32_e64 s[4:5], s14, v104
	s_cbranch_vccnz .LBB43_40
; %bb.8:                                ;   in Loop: Header=BB43_7 Depth=1
	v_mov_b32_e32 v0, 0
	s_mov_b32 s31, 0
	s_waitcnt lgkmcnt(0)
	v_mov_b32_e32 v1, v0
	v_mov_b32_e32 v2, v0
	;; [unrolled: 1-line block ×63, first 2 shown]
	s_branch .LBB43_11
.LBB43_9:                               ;   in Loop: Header=BB43_11 Depth=2
	s_or_b64 exec, exec, s[8:9]
.LBB43_10:                              ;   in Loop: Header=BB43_11 Depth=2
	s_or_b64 exec, exec, s[6:7]
	s_addk_i32 s31, 0x800
	s_cmp_ge_u32 s31, s12
	s_cbranch_scc1 .LBB43_41
.LBB43_11:                              ;   Parent Loop BB43_7 Depth=1
                                        ; =>  This Inner Loop Header: Depth=2
	v_add_u32_e32 v97, s31, v100
	v_cmp_gt_u32_e32 vcc, s12, v97
	s_and_saveexec_b64 s[24:25], vcc
	s_cbranch_execz .LBB43_37
; %bb.12:                               ;   in Loop: Header=BB43_11 Depth=2
	v_add_u32_e32 v98, s31, v102
	s_waitcnt lgkmcnt(0)
	global_load_dwordx4 v[72:75], v98, s[16:17] nt
	s_and_saveexec_b64 s[6:7], s[4:5]
	s_cbranch_execz .LBB43_14
; %bb.13:                               ;   in Loop: Header=BB43_11 Depth=2
	s_waitcnt vmcnt(1)
	v_lshl_add_u64 v[76:77], s[16:17], 0, v[98:99]
	v_lshl_add_u64 v[76:77], v[76:77], 0, s[20:21]
	global_load_dwordx4 v[76:79], v[76:77], off nt
.LBB43_14:                              ;   in Loop: Header=BB43_11 Depth=2
	s_or_b64 exec, exec, s[6:7]
	v_add_u32_e32 v105, 0x400, v97
	v_cmp_gt_u32_e64 s[6:7], s12, v105
	s_and_saveexec_b64 s[8:9], s[6:7]
	s_cbranch_execz .LBB43_18
; %bb.15:                               ;   in Loop: Header=BB43_11 Depth=2
	v_add_u32_e32 v98, 0x400, v98
	global_load_dwordx4 v[64:67], v98, s[16:17] nt
	s_and_saveexec_b64 s[26:27], s[4:5]
	s_cbranch_execz .LBB43_17
; %bb.16:                               ;   in Loop: Header=BB43_11 Depth=2
	s_waitcnt vmcnt(2)
	v_lshl_add_u64 v[68:69], s[16:17], 0, v[98:99]
	v_lshl_add_u64 v[68:69], v[68:69], 0, s[20:21]
	global_load_dwordx4 v[68:71], v[68:69], off nt
.LBB43_17:                              ;   in Loop: Header=BB43_11 Depth=2
	s_or_b64 exec, exec, s[26:27]
.LBB43_18:                              ;   in Loop: Header=BB43_11 Depth=2
	s_or_b64 exec, exec, s[8:9]
	v_cmp_lt_u32_e64 s[8:9], s30, v97
                                        ; implicit-def: $vgpr84_vgpr85
	s_and_saveexec_b64 s[26:27], s[8:9]
	s_xor_b64 s[8:9], exec, s[26:27]
	s_cbranch_execz .LBB43_20
; %bb.19:                               ;   in Loop: Header=BB43_11 Depth=2
	global_load_dwordx4 v[84:87], v97, s[10:11]
.LBB43_20:                              ;   in Loop: Header=BB43_11 Depth=2
	s_andn2_saveexec_b64 s[8:9], s[8:9]
	s_cbranch_execz .LBB43_22
; %bb.21:                               ;   in Loop: Header=BB43_11 Depth=2
	s_waitcnt vmcnt(0)
	ds_read_b128 v[84:87], v97
.LBB43_22:                              ;   in Loop: Header=BB43_11 Depth=2
	s_or_b64 exec, exec, s[8:9]
	v_add_u32_e32 v98, s31, v101
	v_cmp_lt_u32_e64 s[8:9], s30, v98
                                        ; implicit-def: $vgpr92_vgpr93
	s_and_saveexec_b64 s[26:27], s[8:9]
	s_xor_b64 s[8:9], exec, s[26:27]
	s_cbranch_execnz .LBB43_25
; %bb.23:                               ;   in Loop: Header=BB43_11 Depth=2
	s_andn2_saveexec_b64 s[8:9], s[8:9]
	s_cbranch_execnz .LBB43_26
.LBB43_24:                              ;   in Loop: Header=BB43_11 Depth=2
	s_or_b64 exec, exec, s[8:9]
	s_and_saveexec_b64 s[8:9], s[6:7]
	s_cbranch_execnz .LBB43_27
	s_branch .LBB43_36
.LBB43_25:                              ;   in Loop: Header=BB43_11 Depth=2
	global_load_dwordx4 v[92:95], v98, s[10:11]
	s_andn2_saveexec_b64 s[8:9], s[8:9]
	s_cbranch_execz .LBB43_24
.LBB43_26:                              ;   in Loop: Header=BB43_11 Depth=2
	s_waitcnt vmcnt(0)
	ds_read_b128 v[92:95], v98
	s_or_b64 exec, exec, s[8:9]
	s_and_saveexec_b64 s[8:9], s[6:7]
	s_cbranch_execz .LBB43_36
.LBB43_27:                              ;   in Loop: Header=BB43_11 Depth=2
	v_cmp_lt_u32_e64 s[6:7], s30, v105
                                        ; implicit-def: $vgpr80_vgpr81
	s_and_saveexec_b64 s[26:27], s[6:7]
	s_xor_b64 s[6:7], exec, s[26:27]
	s_cbranch_execz .LBB43_29
; %bb.28:                               ;   in Loop: Header=BB43_11 Depth=2
	global_load_dwordx4 v[80:83], v105, s[10:11]
.LBB43_29:                              ;   in Loop: Header=BB43_11 Depth=2
	s_andn2_saveexec_b64 s[6:7], s[6:7]
	s_cbranch_execz .LBB43_31
; %bb.30:                               ;   in Loop: Header=BB43_11 Depth=2
	s_waitcnt vmcnt(0)
	ds_read_b128 v[80:83], v97 offset:1024
.LBB43_31:                              ;   in Loop: Header=BB43_11 Depth=2
	s_or_b64 exec, exec, s[6:7]
	s_waitcnt vmcnt(1)
	v_add_u32_e32 v90, 0x400, v98
	v_cmp_lt_u32_e64 s[6:7], s30, v90
                                        ; implicit-def: $vgpr88_vgpr89
	s_and_saveexec_b64 s[26:27], s[6:7]
	s_xor_b64 s[6:7], exec, s[26:27]
	s_cbranch_execz .LBB43_33
; %bb.32:                               ;   in Loop: Header=BB43_11 Depth=2
	global_load_dwordx4 v[88:91], v90, s[10:11]
                                        ; implicit-def: $vgpr98
.LBB43_33:                              ;   in Loop: Header=BB43_11 Depth=2
	s_andn2_saveexec_b64 s[6:7], s[6:7]
	s_cbranch_execz .LBB43_35
; %bb.34:                               ;   in Loop: Header=BB43_11 Depth=2
	s_waitcnt vmcnt(0)
	ds_read_b128 v[88:91], v98 offset:1024
.LBB43_35:                              ;   in Loop: Header=BB43_11 Depth=2
	s_or_b64 exec, exec, s[6:7]
.LBB43_36:                              ;   in Loop: Header=BB43_11 Depth=2
	s_or_b64 exec, exec, s[8:9]
.LBB43_37:                              ;   in Loop: Header=BB43_11 Depth=2
	s_or_b64 exec, exec, s[24:25]
	s_and_saveexec_b64 s[6:7], vcc
	s_cbranch_execz .LBB43_10
; %bb.38:                               ;   in Loop: Header=BB43_11 Depth=2
	s_waitcnt vmcnt(0) lgkmcnt(0)
	v_mfma_f32_32x32x16_fp8_fp8 v[48:63], v[84:85], v[72:73], v[48:63]
	v_add_u32_e32 v97, 0x400, v97
	v_cmp_gt_u32_e32 vcc, s12, v97
	v_mfma_f32_32x32x16_fp8_fp8 v[32:47], v[84:85], v[76:77], v[32:47]
	v_mfma_f32_32x32x16_fp8_fp8 v[16:31], v[92:93], v[72:73], v[16:31]
	v_mfma_f32_32x32x16_fp8_fp8 v[0:15], v[92:93], v[76:77], v[0:15]
	v_mfma_f32_32x32x16_fp8_fp8 v[48:63], v[86:87], v[74:75], v[48:63]
	v_mfma_f32_32x32x16_fp8_fp8 v[32:47], v[86:87], v[78:79], v[32:47]
	v_mfma_f32_32x32x16_fp8_fp8 v[16:31], v[94:95], v[74:75], v[16:31]
	v_mfma_f32_32x32x16_fp8_fp8 v[0:15], v[94:95], v[78:79], v[0:15]
	s_and_saveexec_b64 s[8:9], vcc
	s_cbranch_execz .LBB43_9
; %bb.39:                               ;   in Loop: Header=BB43_11 Depth=2
	v_mfma_f32_32x32x16_fp8_fp8 v[48:63], v[80:81], v[64:65], v[48:63]
	v_mfma_f32_32x32x16_fp8_fp8 v[32:47], v[80:81], v[68:69], v[32:47]
	;; [unrolled: 1-line block ×8, first 2 shown]
	s_branch .LBB43_9
.LBB43_40:                              ;   in Loop: Header=BB43_7 Depth=1
	v_mov_b32_e32 v63, v99
	v_mov_b32_e32 v62, v99
	;; [unrolled: 1-line block ×13, first 2 shown]
	s_waitcnt lgkmcnt(0)
	v_mov_b32_e32 v50, v99
	v_mov_b32_e32 v49, v99
	;; [unrolled: 1-line block ×51, first 2 shown]
.LBB43_41:                              ;   in Loop: Header=BB43_7 Depth=1
	;;#ASMSTART
	v_add_f32 v56, v57, v56 row_shl:1 bound_ctrl:0 
	;;#ASMEND
	;;#ASMSTART
	v_add_f32 v40, v41, v40 row_shl:1 bound_ctrl:0 
	;;#ASMEND
	;;#ASMSTART
	v_add_f32 v24, v25, v24 row_shl:1 bound_ctrl:0 
	;;#ASMEND
	;;#ASMSTART
	v_add_f32 v8, v9, v8 row_shl:1 bound_ctrl:0 
	;;#ASMEND
	;;#ASMSTART
	v_add_f32 v48, v49, v48 row_shl:1 bound_ctrl:0 
	;;#ASMEND
	;;#ASMSTART
	v_add_f32 v32, v33, v32 row_shl:1 bound_ctrl:0 
	;;#ASMEND
	s_nop 0
	;;#ASMSTART
	v_add_f32 v56, v58, v56 row_shl:2 bound_ctrl:0 
	;;#ASMEND
	;;#ASMSTART
	v_add_f32 v40, v42, v40 row_shl:2 bound_ctrl:0 
	;;#ASMEND
	;;#ASMSTART
	v_add_f32 v24, v26, v24 row_shl:2 bound_ctrl:0 
	;;#ASMEND
	;;#ASMSTART
	v_add_f32 v8, v10, v8 row_shl:2 bound_ctrl:0 
	;;#ASMEND
	;;#ASMSTART
	v_add_f32 v16, v17, v16 row_shl:1 bound_ctrl:0 
	;;#ASMEND
	;;#ASMSTART
	v_add_f32 v0, v1, v0 row_shl:1 bound_ctrl:0 
	;;#ASMEND
	s_nop 0
	;; [unrolled: 19-line block ×6, first 2 shown]
	;;#ASMSTART
	v_add_f32 v56, v63, v56 row_shl:11 bound_ctrl:0 
	;;#ASMEND
	ds_bpermute_b32 v50, v103, v56 offset:208
	;;#ASMSTART
	v_add_f32 v40, v47, v40 row_shl:11 bound_ctrl:0 
	;;#ASMEND
	ds_bpermute_b32 v34, v103, v40 offset:208
	;; [unrolled: 4-line block ×4, first 2 shown]
	;;#ASMSTART
	v_add_f32 v48, v52, v48 row_shl:8 bound_ctrl:0 
	;;#ASMEND
	;;#ASMSTART
	v_add_f32 v32, v36, v32 row_shl:8 bound_ctrl:0 
	;;#ASMEND
	;; [unrolled: 3-line block ×4, first 2 shown]
	s_waitcnt lgkmcnt(0)
	v_add_f32_e32 v50, v56, v50
	;;#ASMSTART
	v_add_f32 v48, v53, v48 row_shl:9 bound_ctrl:0 
	;;#ASMEND
	;;#ASMSTART
	v_add_f32 v32, v37, v32 row_shl:9 bound_ctrl:0 
	;;#ASMEND
	;; [unrolled: 3-line block ×4, first 2 shown]
	v_add_f32_e32 v34, v40, v34
	;;#ASMSTART
	v_add_f32 v48, v54, v48 row_shl:10 bound_ctrl:0 
	;;#ASMEND
	;;#ASMSTART
	v_add_f32 v32, v38, v32 row_shl:10 bound_ctrl:0 
	;;#ASMEND
	;; [unrolled: 3-line block ×3, first 2 shown]
	v_add_f32_e32 v18, v24, v18
	;;#ASMSTART
	v_add_f32 v0, v6, v0 row_shl:10 bound_ctrl:0 
	;;#ASMEND
	v_add_f32_e32 v2, v8, v2
	;;#ASMSTART
	v_add_f32 v48, v55, v48 row_shl:11 bound_ctrl:0 
	;;#ASMEND
	ds_bpermute_b32 v49, v103, v48 offset:144
	ds_bpermute_b32 v50, v103, v50 offset:64
	;;#ASMSTART
	v_add_f32 v32, v39, v32 row_shl:11 bound_ctrl:0 
	;;#ASMEND
	ds_bpermute_b32 v33, v103, v32 offset:144
	ds_bpermute_b32 v34, v103, v34 offset:64
	;; [unrolled: 5-line block ×4, first 2 shown]
	s_and_saveexec_b64 s[4:5], s[0:1]
	s_cbranch_execz .LBB43_6
; %bb.42:                               ;   in Loop: Header=BB43_7 Depth=1
	s_waitcnt lgkmcnt(7)
	v_add_f32_e32 v2, v48, v49
	s_waitcnt lgkmcnt(6)
	v_add_f32_e32 v2, v2, v50
	v_mul_f32_e32 v2, s15, v2
	v_mov_b32_e32 v97, v99
	v_fma_mixlo_f16 v5, s28, v2, 0
	v_lshl_add_u64 v[2:3], v[96:97], 1, s[18:19]
	v_cmp_gt_u32_e32 vcc, s14, v104
	global_store_short v[2:3], v5, off
	s_and_saveexec_b64 s[6:7], vcc
	s_cbranch_execz .LBB43_44
; %bb.43:                               ;   in Loop: Header=BB43_7 Depth=1
	s_waitcnt lgkmcnt(5)
	v_add_f32_e32 v5, v32, v33
	s_waitcnt lgkmcnt(4)
	v_add_f32_e32 v5, v5, v34
	v_mul_f32_e32 v5, s15, v5
	v_fma_mixlo_f16 v5, s28, v5, 0
	global_store_short v[2:3], v5, off offset:2
.LBB43_44:                              ;   in Loop: Header=BB43_7 Depth=1
	s_or_b64 exec, exec, s[6:7]
	s_waitcnt lgkmcnt(3)
	v_add_f32_e32 v2, v16, v17
	s_waitcnt lgkmcnt(2)
	v_add_f32_e32 v2, v2, v18
	v_mul_f32_e32 v2, s15, v2
	v_add_u32_e32 v98, s14, v96
	v_fma_mixlo_f16 v5, s28, v2, 0
	v_lshl_add_u64 v[2:3], v[98:99], 1, s[18:19]
	global_store_short v[2:3], v5, off
	s_and_b64 exec, exec, vcc
	s_cbranch_execz .LBB43_6
; %bb.45:                               ;   in Loop: Header=BB43_7 Depth=1
	s_waitcnt lgkmcnt(1)
	v_add_f32_e32 v0, v0, v1
	s_waitcnt lgkmcnt(0)
	v_add_f32_e32 v0, v0, v4
	v_mul_f32_e32 v0, s15, v0
	v_add_u32_e32 v98, s14, v104
	v_fma_mixlo_f16 v2, s28, v0, 0
	v_lshl_add_u64 v[0:1], v[98:99], 1, s[18:19]
	global_store_short v[0:1], v2, off
	s_branch .LBB43_6
.LBB43_46:
	s_endpgm
	.section	.rodata,"a",@progbits
	.p2align	6, 0x0
	.amdhsa_kernel _Z13wvSplitKQ_hf_I6__halfN3c1015Float8_e4m3fnuzELi64ELi2ELi16ELi16ELi2ELi2EEviiiPKT0_S5_PT_PKfS9_ii
		.amdhsa_group_segment_fixed_size 65536
		.amdhsa_private_segment_fixed_size 0
		.amdhsa_kernarg_size 64
		.amdhsa_user_sgpr_count 2
		.amdhsa_user_sgpr_dispatch_ptr 0
		.amdhsa_user_sgpr_queue_ptr 0
		.amdhsa_user_sgpr_kernarg_segment_ptr 1
		.amdhsa_user_sgpr_dispatch_id 0
		.amdhsa_user_sgpr_kernarg_preload_length 0
		.amdhsa_user_sgpr_kernarg_preload_offset 0
		.amdhsa_user_sgpr_private_segment_size 0
		.amdhsa_uses_dynamic_stack 0
		.amdhsa_enable_private_segment 0
		.amdhsa_system_sgpr_workgroup_id_x 1
		.amdhsa_system_sgpr_workgroup_id_y 0
		.amdhsa_system_sgpr_workgroup_id_z 0
		.amdhsa_system_sgpr_workgroup_info 0
		.amdhsa_system_vgpr_workitem_id 1
		.amdhsa_next_free_vgpr 106
		.amdhsa_next_free_sgpr 32
		.amdhsa_accum_offset 108
		.amdhsa_reserve_vcc 1
		.amdhsa_float_round_mode_32 0
		.amdhsa_float_round_mode_16_64 0
		.amdhsa_float_denorm_mode_32 3
		.amdhsa_float_denorm_mode_16_64 3
		.amdhsa_dx10_clamp 1
		.amdhsa_ieee_mode 1
		.amdhsa_fp16_overflow 0
		.amdhsa_tg_split 0
		.amdhsa_exception_fp_ieee_invalid_op 0
		.amdhsa_exception_fp_denorm_src 0
		.amdhsa_exception_fp_ieee_div_zero 0
		.amdhsa_exception_fp_ieee_overflow 0
		.amdhsa_exception_fp_ieee_underflow 0
		.amdhsa_exception_fp_ieee_inexact 0
		.amdhsa_exception_int_div_zero 0
	.end_amdhsa_kernel
	.section	.text._Z13wvSplitKQ_hf_I6__halfN3c1015Float8_e4m3fnuzELi64ELi2ELi16ELi16ELi2ELi2EEviiiPKT0_S5_PT_PKfS9_ii,"axG",@progbits,_Z13wvSplitKQ_hf_I6__halfN3c1015Float8_e4m3fnuzELi64ELi2ELi16ELi16ELi2ELi2EEviiiPKT0_S5_PT_PKfS9_ii,comdat
.Lfunc_end43:
	.size	_Z13wvSplitKQ_hf_I6__halfN3c1015Float8_e4m3fnuzELi64ELi2ELi16ELi16ELi2ELi2EEviiiPKT0_S5_PT_PKfS9_ii, .Lfunc_end43-_Z13wvSplitKQ_hf_I6__halfN3c1015Float8_e4m3fnuzELi64ELi2ELi16ELi16ELi2ELi2EEviiiPKT0_S5_PT_PKfS9_ii
                                        ; -- End function
	.section	.AMDGPU.csdata,"",@progbits
; Kernel info:
; codeLenInByte = 2328
; NumSgprs: 38
; NumVgprs: 106
; NumAgprs: 0
; TotalNumVgprs: 106
; ScratchSize: 0
; MemoryBound: 1
; FloatMode: 240
; IeeeMode: 1
; LDSByteSize: 65536 bytes/workgroup (compile time only)
; SGPRBlocks: 4
; VGPRBlocks: 13
; NumSGPRsForWavesPerEU: 38
; NumVGPRsForWavesPerEU: 106
; AccumOffset: 108
; Occupancy: 4
; WaveLimiterHint : 0
; COMPUTE_PGM_RSRC2:SCRATCH_EN: 0
; COMPUTE_PGM_RSRC2:USER_SGPR: 2
; COMPUTE_PGM_RSRC2:TRAP_HANDLER: 0
; COMPUTE_PGM_RSRC2:TGID_X_EN: 1
; COMPUTE_PGM_RSRC2:TGID_Y_EN: 0
; COMPUTE_PGM_RSRC2:TGID_Z_EN: 0
; COMPUTE_PGM_RSRC2:TIDIG_COMP_CNT: 1
; COMPUTE_PGM_RSRC3_GFX90A:ACCUM_OFFSET: 26
; COMPUTE_PGM_RSRC3_GFX90A:TG_SPLIT: 0
	.section	.text._Z17wvSplitKQ_hf_sml_I6__halfN3c1015Float8_e4m3fnuzELi64ELi4ELi16ELi16ELi1ELi3EEviiiPKT0_S5_PT_PKfS9_ii,"axG",@progbits,_Z17wvSplitKQ_hf_sml_I6__halfN3c1015Float8_e4m3fnuzELi64ELi4ELi16ELi16ELi1ELi3EEviiiPKT0_S5_PT_PKfS9_ii,comdat
	.protected	_Z17wvSplitKQ_hf_sml_I6__halfN3c1015Float8_e4m3fnuzELi64ELi4ELi16ELi16ELi1ELi3EEviiiPKT0_S5_PT_PKfS9_ii ; -- Begin function _Z17wvSplitKQ_hf_sml_I6__halfN3c1015Float8_e4m3fnuzELi64ELi4ELi16ELi16ELi1ELi3EEviiiPKT0_S5_PT_PKfS9_ii
	.globl	_Z17wvSplitKQ_hf_sml_I6__halfN3c1015Float8_e4m3fnuzELi64ELi4ELi16ELi16ELi1ELi3EEviiiPKT0_S5_PT_PKfS9_ii
	.p2align	8
	.type	_Z17wvSplitKQ_hf_sml_I6__halfN3c1015Float8_e4m3fnuzELi64ELi4ELi16ELi16ELi1ELi3EEviiiPKT0_S5_PT_PKfS9_ii,@function
_Z17wvSplitKQ_hf_sml_I6__halfN3c1015Float8_e4m3fnuzELi64ELi4ELi16ELi16ELi1ELi3EEviiiPKT0_S5_PT_PKfS9_ii: ; @_Z17wvSplitKQ_hf_sml_I6__halfN3c1015Float8_e4m3fnuzELi64ELi4ELi16ELi16ELi1ELi3EEviiiPKT0_S5_PT_PKfS9_ii
; %bb.0:
	s_load_dwordx4 s[4:7], s[0:1], 0x0
	s_load_dwordx4 s[8:11], s[0:1], 0x28
	v_bfe_u32 v1, v0, 10, 10
	v_and_b32_e32 v0, 0x3ff, v0
	v_lshlrev_b32_e32 v2, 4, v0
	s_waitcnt lgkmcnt(0)
	s_mul_i32 s3, s4, 3
	scratch_store_dword off, v2, off offset:704 ; 4-byte Folded Spill
	v_lshl_add_u32 v2, v1, 10, v2
	s_min_i32 s3, s3, 0x10000
	v_cmp_gt_u32_e32 vcc, s3, v2
	s_and_saveexec_b64 s[12:13], vcc
	s_cbranch_execz .LBB44_3
; %bb.1:
	s_load_dwordx2 s[14:15], s[0:1], 0x18
	s_mov_b64 s[16:17], 0
.LBB44_2:                               ; =>This Inner Loop Header: Depth=1
	s_waitcnt lgkmcnt(0)
	global_load_dwordx4 v[4:7], v2, s[14:15]
	s_waitcnt vmcnt(0)
	ds_write_b128 v2, v[4:7]
	v_add_u32_e32 v2, 0x4000, v2
	v_cmp_le_u32_e32 vcc, s3, v2
	s_or_b64 s[16:17], vcc, s[16:17]
	s_andn2_b64 exec, exec, s[16:17]
	s_cbranch_execnz .LBB44_2
.LBB44_3:
	s_or_b64 exec, exec, s[12:13]
	s_load_dwordx2 s[16:17], s[0:1], 0x38
	s_waitcnt lgkmcnt(0)
	s_barrier
	v_cmp_gt_u32_e32 vcc, s16, v1
	s_and_saveexec_b64 s[12:13], vcc
	s_cbranch_execz .LBB44_16
; %bb.4:
	s_mul_i32 s2, s2, s16
	v_add_u32_e32 v1, s2, v1
	v_lshlrev_b32_e32 v18, 2, v1
	v_cmp_gt_u32_e32 vcc, s6, v18
	s_and_b64 exec, exec, vcc
	s_cbranch_execz .LBB44_16
; %bb.5:
	s_load_dword s7, s[8:9], 0x0
	s_load_dword s22, s[10:11], 0x0
	s_load_dwordx2 s[12:13], s[0:1], 0x10
	s_load_dwordx2 s[14:15], s[0:1], 0x20
	scratch_load_dword v2, off, off offset:704 ; 4-byte Folded Reload
	v_cmp_eq_u32_e64 s[0:1], 0, v0
	s_cmp_lg_u32 s4, 0
	s_cselect_b64 s[2:3], -1, 0
	s_mul_i32 s18, s16, s17
	s_mov_b32 s9, 0
	s_lshl_b32 s23, s18, 2
	s_mul_i32 s18, s18, s5
	s_mov_b32 s8, s5
	s_lshl_b32 s10, s5, 1
	s_mov_b32 s11, s9
	s_mul_i32 s16, s5, 3
	s_mov_b32 s17, s9
	v_mov_b32_e32 v125, 0
	s_waitcnt vmcnt(0)
	v_lshl_add_u32 v0, s4, 1, v2
	scratch_store_dword off, v0, off offset:712 ; 4-byte Folded Spill
	v_add_u32_e32 v0, s4, v2
	scratch_store_dword off, v0, off offset:716 ; 4-byte Folded Spill
	v_mul_lo_u32 v0, s5, v1
	v_lshl_add_u32 v0, v0, 2, v2
	scratch_store_dword off, v0, off offset:708 ; 4-byte Folded Spill
	v_cndmask_b32_e64 v0, 0, 1, s[2:3]
	v_cmp_ne_u32_e64 s[2:3], 1, v0
	v_mbcnt_lo_u32_b32 v0, -1, 0
	v_mbcnt_hi_u32_b32 v0, -1, v0
	v_lshlrev_b32_e32 v0, 2, v0
	s_lshl_b32 s5, s18, 2
	s_mov_b64 s[18:19], 0
	v_and_b32_e32 v126, 0x100, v0
	s_branch .LBB44_7
.LBB44_6:                               ;   in Loop: Header=BB44_7 Depth=1
	s_or_b64 exec, exec, s[20:21]
	scratch_load_dword v0, off, off offset:708 ; 4-byte Folded Reload
	s_waitcnt vmcnt(1)
	v_add_u32_e32 v18, s23, v18
	v_cmp_le_u32_e32 vcc, s6, v18
	s_or_b64 s[18:19], vcc, s[18:19]
	s_waitcnt vmcnt(0)
	v_add_u32_e32 v0, s5, v0
	scratch_store_dword off, v0, off offset:708 ; 4-byte Folded Spill
	s_andn2_b64 exec, exec, s[18:19]
	s_cbranch_execz .LBB44_16
.LBB44_7:                               ; =>This Loop Header: Depth=1
                                        ;     Child Loop BB44_9 Depth 2
	scratch_store_dwordx2 off, v[18:19], off offset:720 ; 8-byte Folded Spill
	s_waitcnt lgkmcnt(0)
	v_mov_b32_e32 v15, v125
	v_mov_b32_e32 v14, v125
	v_mov_b32_e32 v13, v125
	v_mov_b32_e32 v12, v125
	v_mov_b32_e32 v11, v125
	v_mov_b32_e32 v10, v125
	v_mov_b32_e32 v9, v125
	v_mov_b32_e32 v8, v125
	v_mov_b32_e32 v7, v125
	v_mov_b32_e32 v6, v125
	v_mov_b32_e32 v5, v125
	v_mov_b32_e32 v4, v125
	v_mov_b32_e32 v3, v125
	v_mov_b32_e32 v2, v125
	v_mov_b32_e32 v1, v125
	v_mov_b32_e32 v0, v125
	v_mov_b32_e32 v31, v125
	v_mov_b32_e32 v30, v125
	v_mov_b32_e32 v29, v125
	v_mov_b32_e32 v28, v125
	v_mov_b32_e32 v27, v125
	v_mov_b32_e32 v26, v125
	v_mov_b32_e32 v25, v125
	v_mov_b32_e32 v24, v125
	v_mov_b32_e32 v23, v125
	v_mov_b32_e32 v22, v125
	v_mov_b32_e32 v21, v125
	v_mov_b32_e32 v20, v125
	v_mov_b32_e32 v19, v125
	v_mov_b32_e32 v18, v125
	v_mov_b32_e32 v17, v125
	v_mov_b32_e32 v16, v125
	scratch_store_dwordx4 off, v[0:3], off offset:128 ; 16-byte Folded Spill
	s_nop 0
	scratch_store_dwordx4 off, v[4:7], off offset:144 ; 16-byte Folded Spill
	scratch_store_dwordx4 off, v[8:11], off offset:160 ; 16-byte Folded Spill
	scratch_store_dwordx4 off, v[12:15], off offset:176 ; 16-byte Folded Spill
	scratch_store_dwordx4 off, v[16:19], off offset:192 ; 16-byte Folded Spill
	s_nop 0
	scratch_store_dwordx4 off, v[20:23], off offset:208 ; 16-byte Folded Spill
	scratch_store_dwordx4 off, v[24:27], off offset:224 ; 16-byte Folded Spill
	scratch_store_dwordx4 off, v[28:31], off offset:240 ; 16-byte Folded Spill
	;; [unrolled: 5-line block ×3, first 2 shown]
	s_and_b64 vcc, exec, s[2:3]
	v_mov_b32_e32 v79, v125
	v_mov_b32_e32 v78, v125
	;; [unrolled: 1-line block ×80, first 2 shown]
	scratch_store_dwordx4 off, v[16:19], off offset:320 ; 16-byte Folded Spill
	s_nop 0
	scratch_store_dwordx4 off, v[20:23], off offset:336 ; 16-byte Folded Spill
	scratch_store_dwordx4 off, v[24:27], off offset:352 ; 16-byte Folded Spill
	;; [unrolled: 1-line block ×4, first 2 shown]
	s_nop 0
	scratch_store_dwordx4 off, v[20:23], off offset:400 ; 16-byte Folded Spill
	scratch_store_dwordx4 off, v[24:27], off offset:416 ; 16-byte Folded Spill
	;; [unrolled: 1-line block ×3, first 2 shown]
	s_cbranch_vccnz .LBB44_14
; %bb.8:                                ;   in Loop: Header=BB44_7 Depth=1
	v_mov_b32_e32 v16, 0
	v_mov_b32_e32 v0, v16
	;; [unrolled: 1-line block ×17, first 2 shown]
	scratch_store_dwordx4 off, v[0:3], off offset:384 ; 16-byte Folded Spill
	s_nop 0
	scratch_store_dwordx4 off, v[4:7], off offset:400 ; 16-byte Folded Spill
	scratch_store_dwordx4 off, v[8:11], off offset:416 ; 16-byte Folded Spill
	scratch_store_dwordx4 off, v[12:15], off offset:432 ; 16-byte Folded Spill
	scratch_store_dwordx4 off, v[0:3], off offset:320 ; 16-byte Folded Spill
	s_nop 0
	scratch_store_dwordx4 off, v[4:7], off offset:336 ; 16-byte Folded Spill
	scratch_store_dwordx4 off, v[8:11], off offset:352 ; 16-byte Folded Spill
	;; [unrolled: 1-line block ×3, first 2 shown]
	s_mov_b32 s24, 0
	v_mov_b32_e32 v17, v16
	v_mov_b32_e32 v18, v16
	;; [unrolled: 1-line block ×79, first 2 shown]
	scratch_store_dwordx4 off, v[0:3], off offset:256 ; 16-byte Folded Spill
	s_nop 0
	scratch_store_dwordx4 off, v[4:7], off offset:272 ; 16-byte Folded Spill
	scratch_store_dwordx4 off, v[8:11], off offset:288 ; 16-byte Folded Spill
	scratch_store_dwordx4 off, v[12:15], off offset:304 ; 16-byte Folded Spill
	scratch_store_dwordx4 off, v[0:3], off offset:192 ; 16-byte Folded Spill
	s_nop 0
	scratch_store_dwordx4 off, v[4:7], off offset:208 ; 16-byte Folded Spill
	scratch_store_dwordx4 off, v[8:11], off offset:224 ; 16-byte Folded Spill
	scratch_store_dwordx4 off, v[12:15], off offset:240 ; 16-byte Folded Spill
	;; [unrolled: 5-line block ×5, first 2 shown]
.LBB44_9:                               ;   Parent Loop BB44_7 Depth=1
                                        ; =>  This Inner Loop Header: Depth=2
	scratch_store_dwordx4 off, v[48:51], off offset:640 ; 16-byte Folded Spill
	s_nop 0
	scratch_store_dwordx4 off, v[52:55], off offset:656 ; 16-byte Folded Spill
	scratch_store_dwordx4 off, v[56:59], off offset:672 ; 16-byte Folded Spill
	scratch_store_dwordx4 off, v[60:63], off offset:688 ; 16-byte Folded Spill
	scratch_store_dwordx4 off, v[0:3], off offset:576 ; 16-byte Folded Spill
	s_nop 0
	scratch_store_dwordx4 off, v[4:7], off offset:592 ; 16-byte Folded Spill
	scratch_store_dwordx4 off, v[8:11], off offset:608 ; 16-byte Folded Spill
	scratch_store_dwordx4 off, v[12:15], off offset:624 ; 16-byte Folded Spill
	;; [unrolled: 5-line block ×3, first 2 shown]
	s_waitcnt vmcnt(12)
	scratch_store_dwordx4 off, v[80:83], off ; 16-byte Folded Spill
	s_nop 0
	scratch_store_dwordx4 off, v[84:87], off offset:16 ; 16-byte Folded Spill
	scratch_store_dwordx4 off, v[88:91], off offset:32 ; 16-byte Folded Spill
	;; [unrolled: 1-line block ×3, first 2 shown]
	scratch_load_dword v64, off, off offset:704 ; 4-byte Folded Reload
	s_waitcnt vmcnt(0)
	v_add_u32_e32 v93, s24, v64
	v_mov_b64_e32 v[64:65], 0
	v_cmp_gt_u32_e32 vcc, s4, v93
	v_mov_b64_e32 v[66:67], v[64:65]
	v_mov_b64_e32 v[84:85], v[64:65]
	v_mov_b64_e32 v[86:87], v[64:65]
	v_mov_b64_e32 v[88:89], v[64:65]
	v_mov_b64_e32 v[90:91], v[64:65]
	v_mov_b64_e32 v[68:69], v[64:65]
	v_mov_b64_e32 v[70:71], v[64:65]
	v_mov_b64_e32 v[72:73], v[64:65]
	v_mov_b64_e32 v[74:75], v[64:65]
	v_mov_b64_e32 v[76:77], v[64:65]
	v_mov_b64_e32 v[78:79], v[64:65]
	v_mov_b64_e32 v[80:81], v[64:65]
	v_mov_b64_e32 v[82:83], v[64:65]
	s_and_saveexec_b64 s[20:21], vcc
	s_cbranch_execz .LBB44_11
; %bb.10:                               ;   in Loop: Header=BB44_9 Depth=2
	scratch_load_dword v64, off, off offset:708 ; 4-byte Folded Reload
	s_waitcnt vmcnt(0)
	v_add_u32_e32 v124, s24, v64
	s_waitcnt lgkmcnt(0)
	v_lshl_add_u64 v[64:65], s[12:13], 0, v[124:125]
	v_lshl_add_u64 v[66:67], v[64:65], 0, s[8:9]
	;; [unrolled: 1-line block ×4, first 2 shown]
	global_load_dwordx4 v[80:83], v124, s[12:13] nt
	global_load_dwordx4 v[76:79], v[66:67], off nt
	global_load_dwordx4 v[72:75], v[68:69], off nt
	ds_read_b128 v[88:91], v93
	global_load_dwordx4 v[68:71], v[64:65], off nt
	s_nop 0
	scratch_load_dword v64, off, off offset:716 ; 4-byte Folded Reload
	scratch_load_dword v65, off, off offset:712 ; 4-byte Folded Reload
	s_waitcnt vmcnt(1)
	v_add_u32_e32 v64, s24, v64
	s_waitcnt vmcnt(0)
	v_add_u32_e32 v65, s24, v65
	ds_read_b128 v[84:87], v64
	ds_read_b128 v[64:67], v65
.LBB44_11:                              ;   in Loop: Header=BB44_9 Depth=2
	s_or_b64 exec, exec, s[20:21]
	scratch_load_dwordx4 v[92:95], off, off offset:64 ; 16-byte Folded Reload
	scratch_load_dwordx4 v[96:99], off, off offset:80 ; 16-byte Folded Reload
	;; [unrolled: 1-line block ×12, first 2 shown]
	scratch_load_dwordx4 v[32:35], off, off ; 16-byte Folded Reload
	scratch_load_dwordx4 v[36:39], off, off offset:16 ; 16-byte Folded Reload
	scratch_load_dwordx4 v[40:43], off, off offset:32 ; 16-byte Folded Reload
	;; [unrolled: 1-line block ×3, first 2 shown]
	s_waitcnt lgkmcnt(0)
	v_mfma_f32_32x32x16_fp8_fp8 v[16:31], v[64:65], v[68:69], v[16:31]
	s_addk_i32 s24, 0x400
	s_cmp_ge_u32 s24, s4
	v_mfma_f32_32x32x16_fp8_fp8 v[16:31], v[66:67], v[70:71], v[16:31]
	s_waitcnt vmcnt(12)
	v_mfma_f32_32x32x16_fp8_fp8 v[92:107], v[88:89], v[80:81], v[92:107]
	s_waitcnt vmcnt(8)
	;; [unrolled: 2-line block ×4, first 2 shown]
	v_mfma_f32_32x32x16_fp8_fp8 v[32:47], v[88:89], v[68:69], v[32:47]
	v_mfma_f32_32x32x16_fp8_fp8 v[92:107], v[90:91], v[82:83], v[92:107]
	s_nop 7
	s_nop 2
	scratch_store_dwordx4 off, v[92:95], off offset:64 ; 16-byte Folded Spill
	s_nop 0
	scratch_store_dwordx4 off, v[96:99], off offset:80 ; 16-byte Folded Spill
	scratch_store_dwordx4 off, v[100:103], off offset:96 ; 16-byte Folded Spill
	scratch_store_dwordx4 off, v[104:107], off offset:112 ; 16-byte Folded Spill
	v_mfma_f32_32x32x16_fp8_fp8 v[108:123], v[90:91], v[78:79], v[108:123]
	s_nop 7
	s_nop 2
	scratch_store_dwordx4 off, v[108:111], off offset:448 ; 16-byte Folded Spill
	s_nop 0
	scratch_store_dwordx4 off, v[112:115], off offset:464 ; 16-byte Folded Spill
	scratch_store_dwordx4 off, v[116:119], off offset:480 ; 16-byte Folded Spill
	scratch_store_dwordx4 off, v[120:123], off offset:496 ; 16-byte Folded Spill
	;; [unrolled: 8-line block ×3, first 2 shown]
	v_mfma_f32_32x32x16_fp8_fp8 v[32:47], v[90:91], v[70:71], v[32:47]
	s_nop 7
	s_nop 2
	scratch_store_dwordx4 off, v[32:35], off ; 16-byte Folded Spill
	s_nop 0
	scratch_store_dwordx4 off, v[36:39], off offset:16 ; 16-byte Folded Spill
	scratch_store_dwordx4 off, v[40:43], off offset:32 ; 16-byte Folded Spill
	;; [unrolled: 1-line block ×3, first 2 shown]
	scratch_load_dwordx4 v[32:35], off, off offset:512 ; 16-byte Folded Reload
	s_nop 0
	scratch_load_dwordx4 v[36:39], off, off offset:528 ; 16-byte Folded Reload
	scratch_load_dwordx4 v[40:43], off, off offset:544 ; 16-byte Folded Reload
	;; [unrolled: 1-line block ×15, first 2 shown]
	s_waitcnt vmcnt(4)
	v_mfma_f32_32x32x16_fp8_fp8 v[88:103], v[84:85], v[72:73], v[88:103]
	s_waitcnt vmcnt(0)
	v_mfma_f32_32x32x16_fp8_fp8 v[48:63], v[84:85], v[68:69], v[48:63]
	v_mfma_f32_32x32x16_fp8_fp8 v[88:103], v[86:87], v[74:75], v[88:103]
	s_nop 7
	s_nop 2
	scratch_store_dwordx4 off, v[88:91], off offset:192 ; 16-byte Folded Spill
	s_nop 0
	scratch_store_dwordx4 off, v[92:95], off offset:208 ; 16-byte Folded Spill
	scratch_store_dwordx4 off, v[96:99], off offset:224 ; 16-byte Folded Spill
	;; [unrolled: 1-line block ×3, first 2 shown]
	v_mfma_f32_32x32x16_fp8_fp8 v[32:47], v[84:85], v[80:81], v[32:47]
	v_mfma_f32_32x32x16_fp8_fp8 v[0:15], v[84:85], v[76:77], v[0:15]
	;; [unrolled: 1-line block ×5, first 2 shown]
	s_nop 7
	s_nop 0
	v_mov_b64_e32 v[98:99], v[62:63]
	v_mov_b64_e32 v[96:97], v[60:61]
	;; [unrolled: 1-line block ×8, first 2 shown]
	scratch_load_dwordx4 v[48:51], off, off offset:640 ; 16-byte Folded Reload
	scratch_load_dwordx4 v[52:55], off, off offset:656 ; 16-byte Folded Reload
	;; [unrolled: 1-line block ×8, first 2 shown]
	s_waitcnt vmcnt(0)
	v_mfma_f32_32x32x16_fp8_fp8 v[100:115], v[64:65], v[76:77], v[100:115]
	v_mfma_f32_32x32x16_fp8_fp8 v[100:115], v[66:67], v[78:79], v[100:115]
	s_nop 7
	s_nop 2
	scratch_store_dwordx4 off, v[100:103], off offset:320 ; 16-byte Folded Spill
	s_nop 0
	scratch_store_dwordx4 off, v[104:107], off offset:336 ; 16-byte Folded Spill
	scratch_store_dwordx4 off, v[108:111], off offset:352 ; 16-byte Folded Spill
	;; [unrolled: 1-line block ×3, first 2 shown]
	scratch_load_dwordx4 v[100:103], off, off offset:384 ; 16-byte Folded Reload
	s_nop 0
	scratch_load_dwordx4 v[104:107], off, off offset:400 ; 16-byte Folded Reload
	scratch_load_dwordx4 v[108:111], off, off offset:416 ; 16-byte Folded Reload
	;; [unrolled: 1-line block ×3, first 2 shown]
	v_mfma_f32_32x32x16_fp8_fp8 v[48:63], v[64:65], v[80:81], v[48:63]
	s_waitcnt vmcnt(0)
	v_mfma_f32_32x32x16_fp8_fp8 v[100:115], v[64:65], v[72:73], v[100:115]
	v_mfma_f32_32x32x16_fp8_fp8 v[48:63], v[66:67], v[82:83], v[48:63]
	;; [unrolled: 1-line block ×3, first 2 shown]
	s_nop 7
	s_nop 2
	scratch_store_dwordx4 off, v[100:103], off offset:384 ; 16-byte Folded Spill
	s_nop 0
	scratch_store_dwordx4 off, v[104:107], off offset:400 ; 16-byte Folded Spill
	scratch_store_dwordx4 off, v[108:111], off offset:416 ; 16-byte Folded Spill
	;; [unrolled: 1-line block ×4, first 2 shown]
	s_nop 0
	scratch_store_dwordx4 off, v[88:91], off offset:272 ; 16-byte Folded Spill
	scratch_store_dwordx4 off, v[92:95], off offset:288 ; 16-byte Folded Spill
	;; [unrolled: 1-line block ×3, first 2 shown]
	s_cbranch_scc1 .LBB44_13
; %bb.12:                               ;   in Loop: Header=BB44_9 Depth=2
	scratch_load_dwordx4 v[80:83], off, off ; 16-byte Folded Reload
	scratch_load_dwordx4 v[84:87], off, off offset:16 ; 16-byte Folded Reload
	scratch_load_dwordx4 v[88:91], off, off offset:32 ; 16-byte Folded Reload
	;; [unrolled: 1-line block ×3, first 2 shown]
	s_branch .LBB44_9
.LBB44_13:                              ;   in Loop: Header=BB44_7 Depth=1
	scratch_load_dwordx4 v[64:67], off, off offset:64 ; 16-byte Folded Reload
	scratch_load_dwordx4 v[68:71], off, off offset:80 ; 16-byte Folded Reload
	;; [unrolled: 1-line block ×8, first 2 shown]
	scratch_load_dwordx4 v[104:107], off, off ; 16-byte Folded Reload
	scratch_load_dwordx4 v[108:111], off, off offset:16 ; 16-byte Folded Reload
	scratch_load_dwordx4 v[112:115], off, off offset:32 ; 16-byte Folded Reload
	;; [unrolled: 1-line block ×3, first 2 shown]
.LBB44_14:                              ;   in Loop: Header=BB44_7 Depth=1
	s_waitcnt vmcnt(11)
	;;#ASMSTART
	v_add_f32 v64, v65, v64 row_shl:1 bound_ctrl:0 
	;;#ASMEND
	s_waitcnt vmcnt(9)
	;;#ASMSTART
	v_add_f32 v72, v73, v72 row_shl:1 bound_ctrl:0 
	;;#ASMEND
	;; [unrolled: 4-line block ×4, first 2 shown]
	;;#ASMSTART
	v_add_f32 v104, v105, v104 row_shl:1 bound_ctrl:0 
	;;#ASMEND
	;;#ASMSTART
	v_add_f32 v88, v89, v88 row_shl:1 bound_ctrl:0 
	;;#ASMEND
	;; [unrolled: 3-line block ×5, first 2 shown]
	s_nop 0
	;;#ASMSTART
	v_add_f32 v112, v114, v112 row_shl:2 bound_ctrl:0 
	;;#ASMEND
	;;#ASMSTART
	v_add_f32 v104, v106, v104 row_shl:2 bound_ctrl:0 
	;;#ASMEND
	;; [unrolled: 3-line block ×6, first 2 shown]
	s_nop 0
	;;#ASMSTART
	v_add_f32 v112, v115, v112 row_shl:3 bound_ctrl:0 
	;;#ASMEND
	;;#ASMSTART
	v_add_f32 v104, v107, v104 row_shl:3 bound_ctrl:0 
	;;#ASMEND
	;; [unrolled: 3-line block ×6, first 2 shown]
	s_waitcnt vmcnt(0)
	;;#ASMSTART
	v_add_f32 v112, v116, v112 row_shl:8 bound_ctrl:0 
	;;#ASMEND
	;;#ASMSTART
	v_add_f32 v104, v108, v104 row_shl:8 bound_ctrl:0 
	;;#ASMEND
	;; [unrolled: 3-line block ×6, first 2 shown]
	s_nop 0
	;;#ASMSTART
	v_add_f32 v112, v117, v112 row_shl:9 bound_ctrl:0 
	;;#ASMEND
	;;#ASMSTART
	v_add_f32 v104, v109, v104 row_shl:9 bound_ctrl:0 
	;;#ASMEND
	;; [unrolled: 3-line block ×6, first 2 shown]
	s_nop 0
	;;#ASMSTART
	v_add_f32 v112, v118, v112 row_shl:10 bound_ctrl:0 
	;;#ASMEND
	;;#ASMSTART
	v_add_f32 v88, v93, v88 row_shl:9 bound_ctrl:0 
	;;#ASMEND
	;; [unrolled: 3-line block ×5, first 2 shown]
	scratch_store_dwordx4 off, v[64:67], off offset:64 ; 16-byte Folded Spill
	s_nop 0
	scratch_store_dwordx4 off, v[68:71], off offset:80 ; 16-byte Folded Spill
	scratch_store_dwordx4 off, v[72:75], off offset:96 ; 16-byte Folded Spill
	;; [unrolled: 1-line block ×3, first 2 shown]
	;;#ASMSTART
	v_add_f32 v96, v103, v96 row_shl:11 bound_ctrl:0 
	;;#ASMEND
	ds_bpermute_b32 v65, v126, v96 offset:208
	;;#ASMSTART
	v_add_f32 v112, v119, v112 row_shl:11 bound_ctrl:0 
	;;#ASMEND
	ds_bpermute_b32 v67, v126, v112 offset:208
	;;#ASMSTART
	v_add_f32 v32, v34, v32 row_shl:2 bound_ctrl:0 
	;;#ASMEND
	;;#ASMSTART
	v_add_f32 v88, v94, v88 row_shl:10 bound_ctrl:0 
	;;#ASMEND
	;; [unrolled: 3-line block ×3, first 2 shown]
	s_waitcnt lgkmcnt(0)
	v_add_f32_e32 v65, v96, v65
	;;#ASMSTART
	v_add_f32 v32, v35, v32 row_shl:3 bound_ctrl:0 
	;;#ASMEND
	;;#ASMSTART
	v_add_f32 v88, v95, v88 row_shl:11 bound_ctrl:0 
	;;#ASMEND
	v_add_f32_e32 v67, v112, v67
	;;#ASMSTART
	v_add_f32 v32, v36, v32 row_shl:8 bound_ctrl:0 
	;;#ASMEND
	v_mov_b32_e32 v36, v104
	;;#ASMSTART
	v_add_f32 v56, v57, v56 row_shl:1 bound_ctrl:0 
	;;#ASMEND
	;;#ASMSTART
	v_add_f32 v48, v49, v48 row_shl:1 bound_ctrl:0 
	;;#ASMEND
	;;#ASMSTART
	v_add_f32 v0, v1, v0 row_shl:1 bound_ctrl:0 
	;;#ASMEND
	ds_bpermute_b32 v89, v126, v65 offset:64
	;;#ASMSTART
	v_add_f32 v56, v58, v56 row_shl:2 bound_ctrl:0 
	;;#ASMEND
	;;#ASMSTART
	v_add_f32 v48, v50, v48 row_shl:2 bound_ctrl:0 
	;;#ASMEND
	;;#ASMSTART
	v_add_f32 v24, v25, v24 row_shl:1 bound_ctrl:0 
	;;#ASMEND
	;;#ASMSTART
	v_add_f32 v8, v9, v8 row_shl:1 bound_ctrl:0 
	;;#ASMEND
	;;#ASMSTART
	v_add_f32 v0, v2, v0 row_shl:2 bound_ctrl:0 
	;;#ASMEND
	;;#ASMSTART
	v_add_f32 v16, v17, v16 row_shl:1 bound_ctrl:0 
	;;#ASMEND
	s_nop 0
	;;#ASMSTART
	v_add_f32 v56, v59, v56 row_shl:3 bound_ctrl:0 
	;;#ASMEND
	;;#ASMSTART
	v_add_f32 v48, v51, v48 row_shl:3 bound_ctrl:0 
	;;#ASMEND
	;;#ASMSTART
	v_add_f32 v24, v26, v24 row_shl:2 bound_ctrl:0 
	;;#ASMEND
	;;#ASMSTART
	v_add_f32 v8, v10, v8 row_shl:2 bound_ctrl:0 
	;;#ASMEND
	;;#ASMSTART
	v_add_f32 v0, v3, v0 row_shl:3 bound_ctrl:0 
	;;#ASMEND
	;;#ASMSTART
	v_add_f32 v16, v18, v16 row_shl:2 bound_ctrl:0 
	;;#ASMEND
	s_nop 0
	;; [unrolled: 19-line block ×5, first 2 shown]
	;;#ASMSTART
	v_add_f32 v56, v63, v56 row_shl:11 bound_ctrl:0 
	;;#ASMEND
	ds_bpermute_b32 v1, v126, v56 offset:208
	;;#ASMSTART
	v_add_f32 v48, v55, v48 row_shl:11 bound_ctrl:0 
	;;#ASMEND
	;;#ASMSTART
	v_add_f32 v24, v30, v24 row_shl:10 bound_ctrl:0 
	;;#ASMEND
	;; [unrolled: 3-line block ×4, first 2 shown]
	s_waitcnt lgkmcnt(0)
	v_add_f32_e32 v1, v56, v1
	;;#ASMSTART
	v_add_f32 v24, v31, v24 row_shl:11 bound_ctrl:0 
	;;#ASMEND
	ds_bpermute_b32 v4, v126, v24 offset:208
	;;#ASMSTART
	v_add_f32 v8, v15, v8 row_shl:11 bound_ctrl:0 
	;;#ASMEND
	ds_bpermute_b32 v69, v126, v8 offset:208
	v_mov_b32_e32 v34, v0
	ds_bpermute_b32 v33, v126, v1 offset:64
	s_waitcnt lgkmcnt(2)
	v_add_f32_e32 v4, v24, v4
	;;#ASMSTART
	v_add_f32 v16, v21, v16 row_shl:9 bound_ctrl:0 
	;;#ASMEND
	s_waitcnt lgkmcnt(1)
	v_add_f32_e32 v69, v8, v69
	ds_bpermute_b32 v21, v126, v4 offset:64
	;;#ASMSTART
	v_add_f32 v40, v41, v40 row_shl:1 bound_ctrl:0 
	;;#ASMEND
	;;#ASMSTART
	v_add_f32 v32, v38, v32 row_shl:10 bound_ctrl:0 
	;;#ASMEND
	;; [unrolled: 3-line block ×3, first 2 shown]
	ds_bpermute_b32 v67, v126, v67 offset:64
	;;#ASMSTART
	v_add_f32 v40, v42, v40 row_shl:2 bound_ctrl:0 
	;;#ASMEND
	;;#ASMSTART
	v_add_f32 v32, v39, v32 row_shl:11 bound_ctrl:0 
	;;#ASMEND
	ds_bpermute_b32 v69, v126, v69 offset:64
	;;#ASMSTART
	v_add_f32 v40, v43, v40 row_shl:3 bound_ctrl:0 
	;;#ASMEND
	;;#ASMSTART
	v_add_f32 v16, v23, v16 row_shl:11 bound_ctrl:0 
	;;#ASMEND
	ds_bpermute_b32 v17, v126, v16 offset:144
	;;#ASMSTART
	v_add_f32 v40, v44, v40 row_shl:8 bound_ctrl:0 
	;;#ASMEND
	ds_bpermute_b32 v64, v126, v72 offset:208
	;;#ASMSTART
	v_add_f32 v40, v45, v40 row_shl:9 bound_ctrl:0 
	;;#ASMEND
	s_waitcnt lgkmcnt(0)
	v_add_f32_e32 v64, v72, v64
	scratch_load_dwordx4 v[72:75], off, off offset:128 ; 16-byte Folded Reload
	scratch_load_dwordx4 v[76:79], off, off offset:144 ; 16-byte Folded Reload
	;; [unrolled: 1-line block ×12, first 2 shown]
	ds_bpermute_b32 v124, v126, v64 offset:64
	scratch_load_dwordx4 v[50:53], off, off offset:320 ; 16-byte Folded Reload
	scratch_load_dwordx4 v[54:57], off, off offset:336 ; 16-byte Folded Reload
	;; [unrolled: 1-line block ×4, first 2 shown]
	;;#ASMSTART
	v_add_f32 v40, v46, v40 row_shl:10 bound_ctrl:0 
	;;#ASMEND
	s_waitcnt vmcnt(5)
	;;#ASMSTART
	v_add_f32 v98, v99, v98 row_shl:1 bound_ctrl:0 
	;;#ASMEND
	s_nop 0
	;;#ASMSTART
	v_add_f32 v98, v100, v98 row_shl:2 bound_ctrl:0 
	;;#ASMEND
	;;#ASMSTART
	v_add_f32 v90, v91, v90 row_shl:1 bound_ctrl:0 
	;;#ASMEND
	s_waitcnt vmcnt(1)
	;;#ASMSTART
	v_add_f32 v58, v59, v58 row_shl:1 bound_ctrl:0 
	;;#ASMEND
	;;#ASMSTART
	v_add_f32 v80, v81, v80 row_shl:1 bound_ctrl:0 
	;;#ASMEND
	;; [unrolled: 3-line block ×6, first 2 shown]
	s_nop 0
	;;#ASMSTART
	v_add_f32 v58, v60, v58 row_shl:2 bound_ctrl:0 
	;;#ASMEND
	;;#ASMSTART
	v_add_f32 v80, v82, v80 row_shl:2 bound_ctrl:0 
	;;#ASMEND
	;;#ASMSTART
	v_add_f32 v116, v118, v116 row_shl:2 bound_ctrl:0 
	;;#ASMEND
	;;#ASMSTART
	v_add_f32 v40, v47, v40 row_shl:11 bound_ctrl:0 
	;;#ASMEND
	;;#ASMSTART
	v_add_f32 v98, v102, v98 row_shl:8 bound_ctrl:0 
	;;#ASMEND
	;;#ASMSTART
	v_add_f32 v90, v93, v90 row_shl:3 bound_ctrl:0 
	;;#ASMEND
	s_nop 0
	;;#ASMSTART
	v_add_f32 v58, v61, v58 row_shl:3 bound_ctrl:0 
	;;#ASMEND
	;;#ASMSTART
	v_add_f32 v80, v83, v80 row_shl:3 bound_ctrl:0 
	;;#ASMEND
	;; [unrolled: 3-line block ×3, first 2 shown]
	ds_bpermute_b32 v68, v126, v40 offset:208
	;;#ASMSTART
	v_add_f32 v98, v103, v98 row_shl:9 bound_ctrl:0 
	;;#ASMEND
	;;#ASMSTART
	v_add_f32 v90, v94, v90 row_shl:8 bound_ctrl:0 
	;;#ASMEND
	s_waitcnt vmcnt(0)
	;;#ASMSTART
	v_add_f32 v58, v62, v58 row_shl:8 bound_ctrl:0 
	;;#ASMEND
	;;#ASMSTART
	v_add_f32 v80, v84, v80 row_shl:8 bound_ctrl:0 
	;;#ASMEND
	;; [unrolled: 3-line block ×6, first 2 shown]
	s_nop 0
	;;#ASMSTART
	v_add_f32 v58, v63, v58 row_shl:9 bound_ctrl:0 
	;;#ASMEND
	;;#ASMSTART
	v_add_f32 v80, v85, v80 row_shl:9 bound_ctrl:0 
	;;#ASMEND
	;; [unrolled: 3-line block ×5, first 2 shown]
	ds_bpermute_b32 v71, v126, v98 offset:208
	;;#ASMSTART
	v_add_f32 v90, v96, v90 row_shl:10 bound_ctrl:0 
	;;#ASMEND
	;;#ASMSTART
	v_add_f32 v58, v64, v58 row_shl:10 bound_ctrl:0 
	;;#ASMEND
	;; [unrolled: 3-line block ×4, first 2 shown]
	s_waitcnt lgkmcnt(0)
	v_add_f32_e32 v71, v98, v71
	;;#ASMSTART
	v_add_f32 v90, v97, v90 row_shl:11 bound_ctrl:0 
	;;#ASMEND
	scratch_load_dwordx4 v[92:95], off, off offset:384 ; 16-byte Folded Reload
	scratch_load_dwordx4 v[96:99], off, off offset:400 ; 16-byte Folded Reload
	;; [unrolled: 1-line block ×4, first 2 shown]
	;;#ASMSTART
	v_add_f32 v58, v65, v58 row_shl:11 bound_ctrl:0 
	;;#ASMEND
	ds_bpermute_b32 v2, v126, v58 offset:208
	;;#ASMSTART
	v_add_f32 v80, v87, v80 row_shl:11 bound_ctrl:0 
	;;#ASMEND
	ds_bpermute_b32 v66, v126, v80 offset:208
	;; [unrolled: 4-line block ×3, first 2 shown]
	s_waitcnt lgkmcnt(2)
	v_add_f32_e32 v2, v58, v2
	ds_bpermute_b32 v35, v126, v2 offset:64
	;;#ASMSTART
	v_add_f32 v72, v74, v72 row_shl:2 bound_ctrl:0 
	;;#ASMEND
	;;#ASMSTART
	v_add_f32 v108, v110, v108 row_shl:2 bound_ctrl:0 
	;;#ASMEND
	;; [unrolled: 3-line block ×3, first 2 shown]
	s_waitcnt lgkmcnt(2)
	v_add_f32_e32 v66, v80, v66
	;;#ASMSTART
	v_add_f32 v72, v75, v72 row_shl:3 bound_ctrl:0 
	;;#ASMEND
	;;#ASMSTART
	v_add_f32 v108, v111, v108 row_shl:3 bound_ctrl:0 
	;;#ASMEND
	;; [unrolled: 3-line block ×3, first 2 shown]
	v_add_f32_e32 v68, v40, v68
	;;#ASMSTART
	v_add_f32 v72, v76, v72 row_shl:8 bound_ctrl:0 
	;;#ASMEND
	s_waitcnt vmcnt(1)
	;;#ASMSTART
	v_add_f32 v100, v101, v100 row_shl:1 bound_ctrl:0 
	;;#ASMEND
	s_nop 0
	;;#ASMSTART
	v_add_f32 v100, v102, v100 row_shl:2 bound_ctrl:0 
	;;#ASMEND
	;;#ASMSTART
	v_add_f32 v92, v93, v92 row_shl:1 bound_ctrl:0 
	;;#ASMEND
	;; [unrolled: 3-line block ×5, first 2 shown]
	s_waitcnt lgkmcnt(1)
	v_add_f32_e32 v70, v116, v70
	;;#ASMSTART
	v_add_f32 v100, v103, v100 row_shl:3 bound_ctrl:0 
	;;#ASMEND
	;;#ASMSTART
	v_add_f32 v92, v94, v92 row_shl:2 bound_ctrl:0 
	;;#ASMEND
	;; [unrolled: 3-line block ×5, first 2 shown]
	ds_bpermute_b32 v66, v126, v66 offset:64
	s_waitcnt vmcnt(0)
	;;#ASMSTART
	v_add_f32 v100, v104, v100 row_shl:8 bound_ctrl:0 
	;;#ASMEND
	;;#ASMSTART
	v_add_f32 v92, v95, v92 row_shl:3 bound_ctrl:0 
	;;#ASMEND
	;; [unrolled: 3-line block ×5, first 2 shown]
	ds_bpermute_b32 v68, v126, v68 offset:64
	;;#ASMSTART
	v_add_f32 v100, v105, v100 row_shl:9 bound_ctrl:0 
	;;#ASMEND
	;;#ASMSTART
	v_add_f32 v92, v96, v92 row_shl:8 bound_ctrl:0 
	;;#ASMEND
	;; [unrolled: 3-line block ×3, first 2 shown]
	ds_bpermute_b32 v70, v126, v70 offset:64
	;;#ASMSTART
	v_add_f32 v100, v106, v100 row_shl:10 bound_ctrl:0 
	;;#ASMEND
	;;#ASMSTART
	v_add_f32 v92, v97, v92 row_shl:9 bound_ctrl:0 
	;;#ASMEND
	ds_bpermute_b32 v71, v126, v71 offset:64
	;;#ASMSTART
	v_add_f32 v100, v107, v100 row_shl:11 bound_ctrl:0 
	;;#ASMEND
	ds_bpermute_b32 v3, v126, v100 offset:208
	;;#ASMSTART
	v_add_f32 v92, v98, v92 row_shl:10 bound_ctrl:0 
	;;#ASMEND
	;;#ASMSTART
	v_add_f32 v50, v57, v50 row_shl:11 bound_ctrl:0 
	;;#ASMEND
	v_mov_b32_e32 v20, v72
	;;#ASMSTART
	v_add_f32 v92, v99, v92 row_shl:11 bound_ctrl:0 
	;;#ASMEND
	s_waitcnt lgkmcnt(0)
	v_add_f32_e32 v3, v100, v3
	ds_bpermute_b32 v37, v126, v3 offset:64
	scratch_load_dwordx4 v[0:3], off, off offset:64 ; 16-byte Folded Reload
	scratch_load_dwordx4 v[4:7], off, off offset:80 ; 16-byte Folded Reload
	scratch_load_dwordx4 v[8:11], off, off offset:96 ; 16-byte Folded Reload
	scratch_load_dwordx4 v[12:15], off, off offset:112 ; 16-byte Folded Reload
	s_waitcnt vmcnt(2)
	ds_bpermute_b32 v5, v126, v88 offset:144
	ds_bpermute_b32 v6, v126, v72 offset:144
	ds_bpermute_b32 v7, v126, v36 offset:144
	s_waitcnt vmcnt(1)
	ds_bpermute_b32 v8, v126, v32 offset:144
	ds_bpermute_b32 v9, v126, v34 offset:144
	ds_bpermute_b32 v11, v126, v108 offset:144
	;; [unrolled: 4-line block ×3, first 2 shown]
	ds_bpermute_b32 v15, v126, v92 offset:144
	ds_bpermute_b32 v4, v126, v0 offset:144
	v_mov_b32_e32 v22, v0
	s_mov_b64 s[20:21], exec
	scratch_load_dwordx2 v[18:19], off, off offset:720 ; 8-byte Folded Reload
	s_and_b64 s[24:25], s[20:21], s[0:1]
	s_mov_b64 exec, s[24:25]
	s_cbranch_execz .LBB44_6
; %bb.15:                               ;   in Loop: Header=BB44_7 Depth=1
	s_waitcnt lgkmcnt(1)
	v_add_f32_e32 v15, v92, v15
	v_add_f32_e32 v0, v48, v13
	;; [unrolled: 1-line block ×14, first 2 shown]
	s_waitcnt lgkmcnt(0)
	v_add_f32_e32 v0, v22, v4
	v_add_f32_e32 v0, v0, v124
	v_mul_f32_e32 v0, s7, v0
	v_mul_f32_e32 v1, s7, v1
	v_fma_mixlo_f16 v0, s22, v0, 0
	s_waitcnt vmcnt(0)
	v_mov_b32_e32 v19, v125
	v_mul_f32_e32 v4, s7, v5
	v_fma_mixlo_f16 v1, s22, v1, 0
	v_mul_f32_e32 v5, s7, v7
	v_lshl_add_u64 v[2:3], v[18:19], 1, s[14:15]
	v_fma_mixhi_f16 v1, s22, v5, 0
	v_fma_mixhi_f16 v0, s22, v4, 0
	global_store_dwordx2 v[2:3], v[0:1], off
	v_add_u32_e32 v124, s6, v18
	v_mul_f32_e32 v0, s7, v8
	v_fma_mixlo_f16 v2, s22, v0, 0
	v_lshl_add_u64 v[0:1], v[124:125], 1, s[14:15]
	global_store_short v[0:1], v2, off
	v_mul_f32_e32 v0, s7, v9
	v_add_f32_e32 v11, v108, v11
	v_fma_mixlo_f16 v2, s22, v0, 0
	v_add_u32_e32 v0, 1, v124
	v_mov_b32_e32 v1, v125
	v_add_f32_e32 v11, v11, v70
	v_lshl_add_u64 v[0:1], v[0:1], 1, s[14:15]
	global_store_short v[0:1], v2, off
	v_mul_f32_e32 v0, s7, v11
	v_add_f32_e32 v12, v90, v12
	v_fma_mixlo_f16 v2, s22, v0, 0
	v_add_u32_e32 v0, 2, v124
	v_mov_b32_e32 v1, v125
	v_add_f32_e32 v12, v12, v71
	v_lshl_add_u64 v[0:1], v[0:1], 1, s[14:15]
	global_store_short v[0:1], v2, off
	v_mul_f32_e32 v0, s7, v12
	v_fma_mixlo_f16 v2, s22, v0, 0
	v_add_u32_e32 v0, 3, v124
	v_mov_b32_e32 v1, v125
	v_add_f32_e32 v14, v50, v14
	v_lshl_add_u64 v[0:1], v[0:1], 1, s[14:15]
	v_add_f32_e32 v14, v14, v35
	global_store_short v[0:1], v2, off
	v_mul_f32_e32 v0, s7, v15
	v_add_u32_e32 v124, s6, v124
	v_fma_mixlo_f16 v2, s22, v0, 0
	v_mul_f32_e32 v3, s7, v14
	v_lshl_add_u64 v[0:1], v[124:125], 1, s[14:15]
	v_fma_mixhi_f16 v2, s22, v3, 0
	global_store_dword v[0:1], v2, off
	v_mul_f32_e32 v0, s7, v13
	v_add_f32_e32 v16, v16, v17
	v_fma_mixlo_f16 v2, s22, v0, 0
	v_add_u32_e32 v0, 2, v124
	v_mov_b32_e32 v1, v125
	v_add_f32_e32 v10, v16, v21
	v_lshl_add_u64 v[0:1], v[0:1], 1, s[14:15]
	global_store_short v[0:1], v2, off
	v_mul_f32_e32 v0, s7, v10
	v_add_u32_e32 v124, 3, v124
	v_fma_mixlo_f16 v2, s22, v0, 0
	v_lshl_add_u64 v[0:1], v[124:125], 1, s[14:15]
	global_store_short v[0:1], v2, off
	s_branch .LBB44_6
.LBB44_16:
	s_endpgm
	.section	.rodata,"a",@progbits
	.p2align	6, 0x0
	.amdhsa_kernel _Z17wvSplitKQ_hf_sml_I6__halfN3c1015Float8_e4m3fnuzELi64ELi4ELi16ELi16ELi1ELi3EEviiiPKT0_S5_PT_PKfS9_ii
		.amdhsa_group_segment_fixed_size 65536
		.amdhsa_private_segment_fixed_size 732
		.amdhsa_kernarg_size 64
		.amdhsa_user_sgpr_count 2
		.amdhsa_user_sgpr_dispatch_ptr 0
		.amdhsa_user_sgpr_queue_ptr 0
		.amdhsa_user_sgpr_kernarg_segment_ptr 1
		.amdhsa_user_sgpr_dispatch_id 0
		.amdhsa_user_sgpr_kernarg_preload_length 0
		.amdhsa_user_sgpr_kernarg_preload_offset 0
		.amdhsa_user_sgpr_private_segment_size 0
		.amdhsa_uses_dynamic_stack 0
		.amdhsa_enable_private_segment 1
		.amdhsa_system_sgpr_workgroup_id_x 1
		.amdhsa_system_sgpr_workgroup_id_y 0
		.amdhsa_system_sgpr_workgroup_id_z 0
		.amdhsa_system_sgpr_workgroup_info 0
		.amdhsa_system_vgpr_workitem_id 1
		.amdhsa_next_free_vgpr 127
		.amdhsa_next_free_sgpr 26
		.amdhsa_accum_offset 128
		.amdhsa_reserve_vcc 1
		.amdhsa_float_round_mode_32 0
		.amdhsa_float_round_mode_16_64 0
		.amdhsa_float_denorm_mode_32 3
		.amdhsa_float_denorm_mode_16_64 3
		.amdhsa_dx10_clamp 1
		.amdhsa_ieee_mode 1
		.amdhsa_fp16_overflow 0
		.amdhsa_tg_split 0
		.amdhsa_exception_fp_ieee_invalid_op 0
		.amdhsa_exception_fp_denorm_src 0
		.amdhsa_exception_fp_ieee_div_zero 0
		.amdhsa_exception_fp_ieee_overflow 0
		.amdhsa_exception_fp_ieee_underflow 0
		.amdhsa_exception_fp_ieee_inexact 0
		.amdhsa_exception_int_div_zero 0
	.end_amdhsa_kernel
	.section	.text._Z17wvSplitKQ_hf_sml_I6__halfN3c1015Float8_e4m3fnuzELi64ELi4ELi16ELi16ELi1ELi3EEviiiPKT0_S5_PT_PKfS9_ii,"axG",@progbits,_Z17wvSplitKQ_hf_sml_I6__halfN3c1015Float8_e4m3fnuzELi64ELi4ELi16ELi16ELi1ELi3EEviiiPKT0_S5_PT_PKfS9_ii,comdat
.Lfunc_end44:
	.size	_Z17wvSplitKQ_hf_sml_I6__halfN3c1015Float8_e4m3fnuzELi64ELi4ELi16ELi16ELi1ELi3EEviiiPKT0_S5_PT_PKfS9_ii, .Lfunc_end44-_Z17wvSplitKQ_hf_sml_I6__halfN3c1015Float8_e4m3fnuzELi64ELi4ELi16ELi16ELi1ELi3EEviiiPKT0_S5_PT_PKfS9_ii
                                        ; -- End function
	.section	.AMDGPU.csdata,"",@progbits
; Kernel info:
; codeLenInByte = 5772
; NumSgprs: 32
; NumVgprs: 127
; NumAgprs: 0
; TotalNumVgprs: 127
; ScratchSize: 732
; MemoryBound: 1
; FloatMode: 240
; IeeeMode: 1
; LDSByteSize: 65536 bytes/workgroup (compile time only)
; SGPRBlocks: 3
; VGPRBlocks: 15
; NumSGPRsForWavesPerEU: 32
; NumVGPRsForWavesPerEU: 127
; AccumOffset: 128
; Occupancy: 4
; WaveLimiterHint : 0
; COMPUTE_PGM_RSRC2:SCRATCH_EN: 1
; COMPUTE_PGM_RSRC2:USER_SGPR: 2
; COMPUTE_PGM_RSRC2:TRAP_HANDLER: 0
; COMPUTE_PGM_RSRC2:TGID_X_EN: 1
; COMPUTE_PGM_RSRC2:TGID_Y_EN: 0
; COMPUTE_PGM_RSRC2:TGID_Z_EN: 0
; COMPUTE_PGM_RSRC2:TIDIG_COMP_CNT: 1
; COMPUTE_PGM_RSRC3_GFX90A:ACCUM_OFFSET: 31
; COMPUTE_PGM_RSRC3_GFX90A:TG_SPLIT: 0
	.section	.text._Z13wvSplitKQ_hf_I6__halfN3c1015Float8_e4m3fnuzELi64ELi7ELi16ELi16ELi1ELi3EEviiiPKT0_S5_PT_PKfS9_ii,"axG",@progbits,_Z13wvSplitKQ_hf_I6__halfN3c1015Float8_e4m3fnuzELi64ELi7ELi16ELi16ELi1ELi3EEviiiPKT0_S5_PT_PKfS9_ii,comdat
	.protected	_Z13wvSplitKQ_hf_I6__halfN3c1015Float8_e4m3fnuzELi64ELi7ELi16ELi16ELi1ELi3EEviiiPKT0_S5_PT_PKfS9_ii ; -- Begin function _Z13wvSplitKQ_hf_I6__halfN3c1015Float8_e4m3fnuzELi64ELi7ELi16ELi16ELi1ELi3EEviiiPKT0_S5_PT_PKfS9_ii
	.globl	_Z13wvSplitKQ_hf_I6__halfN3c1015Float8_e4m3fnuzELi64ELi7ELi16ELi16ELi1ELi3EEviiiPKT0_S5_PT_PKfS9_ii
	.p2align	8
	.type	_Z13wvSplitKQ_hf_I6__halfN3c1015Float8_e4m3fnuzELi64ELi7ELi16ELi16ELi1ELi3EEviiiPKT0_S5_PT_PKfS9_ii,@function
_Z13wvSplitKQ_hf_I6__halfN3c1015Float8_e4m3fnuzELi64ELi7ELi16ELi16ELi1ELi3EEviiiPKT0_S5_PT_PKfS9_ii: ; @_Z13wvSplitKQ_hf_I6__halfN3c1015Float8_e4m3fnuzELi64ELi7ELi16ELi16ELi1ELi3EEviiiPKT0_S5_PT_PKfS9_ii
; %bb.0:
	s_load_dwordx4 s[20:23], s[0:1], 0x0
	s_load_dwordx2 s[24:25], s[0:1], 0x18
	s_load_dwordx4 s[4:7], s[0:1], 0x28
	v_bfe_u32 v1, v0, 10, 10
	v_and_b32_e32 v0, 0x3ff, v0
	v_lshlrev_b32_e32 v4, 4, v0
	v_mov_b32_e32 v2, v4
	s_waitcnt lgkmcnt(0)
	s_mul_i32 s3, s20, 3
	scratch_store_dwordx2 off, v[2:3], off offset:2592 ; 8-byte Folded Spill
	v_lshl_add_u32 v2, v1, 10, v4
	s_min_i32 s3, s3, 0x10000
	v_cmp_gt_u32_e32 vcc, s3, v2
	s_and_saveexec_b64 s[8:9], vcc
	s_cbranch_execz .LBB45_3
; %bb.1:
	s_mov_b64 s[10:11], 0
.LBB45_2:                               ; =>This Inner Loop Header: Depth=1
	global_load_dwordx4 v[4:7], v2, s[24:25]
	s_waitcnt vmcnt(0)
	ds_write_b128 v2, v[4:7]
	v_add_u32_e32 v2, 0x4000, v2
	v_cmp_le_u32_e32 vcc, s3, v2
	s_or_b64 s[10:11], vcc, s[10:11]
	s_andn2_b64 exec, exec, s[10:11]
	s_cbranch_execnz .LBB45_2
.LBB45_3:
	s_or_b64 exec, exec, s[8:9]
	s_load_dwordx2 s[8:9], s[0:1], 0x38
	s_waitcnt lgkmcnt(0)
	s_barrier
	v_cmp_gt_u32_e32 vcc, s8, v1
	s_and_saveexec_b64 s[10:11], vcc
	s_cbranch_execz .LBB45_56
; %bb.4:
	s_mul_i32 s2, s2, s8
	v_add_u32_e32 v1, s2, v1
	v_mul_lo_u32 v20, v1, 7
	v_cmp_gt_u32_e32 vcc, s22, v20
	s_and_b64 exec, exec, vcc
	s_cbranch_execz .LBB45_56
; %bb.5:
	s_load_dword s23, s[4:5], 0x0
	s_load_dword s33, s[6:7], 0x0
	s_load_dwordx2 s[26:27], s[0:1], 0x10
	s_load_dwordx2 s[28:29], s[0:1], 0x20
	scratch_load_dwordx2 v[2:3], off, off offset:2592 ; 8-byte Folded Reload
	s_mov_b32 s4, 0
	v_cmp_eq_u32_e64 s[0:1], 0, v0
	v_mul_lo_u32 v0, s21, v1
	s_mov_b32 s5, s4
	s_mov_b32 s6, s4
	;; [unrolled: 1-line block ×3, first 2 shown]
	s_mul_i32 s38, s8, s9
	s_cmp_lg_u32 s20, 0
	s_mul_i32 s38, s38, 7
	s_cselect_b64 s[30:31], -1, 0
	s_lshl_b32 s39, s22, 1
	s_mul_i32 s40, s38, s21
	s_ashr_i32 s35, s21, 31
	s_mov_b32 s34, s21
	s_mov_b64 s[36:37], 0
	v_mov_b32_e32 v23, 0
	s_mov_b32 s21, 0xffff
	s_waitcnt vmcnt(0)
	v_mad_u64_u32 v[0:1], s[2:3], v0, 7, v[2:3]
	scratch_store_dwordx2 off, v[0:1], off offset:2856 ; 8-byte Folded Spill
	v_mov_b64_e32 v[0:1], s[4:5]
	v_mov_b64_e32 v[2:3], s[6:7]
	scratch_store_dwordx4 off, v[0:3], off offset:2864 ; 16-byte Folded Spill
	s_nop 1
	v_mbcnt_lo_u32_b32 v0, -1, 0
	v_mbcnt_hi_u32_b32 v0, -1, v0
	v_lshlrev_b32_e32 v0, 2, v0
	v_and_b32_e32 v21, 0x100, v0
	scratch_store_dword off, v21, off offset:2880 ; 4-byte Folded Spill
	s_branch .LBB45_7
.LBB45_6:                               ;   in Loop: Header=BB45_7 Depth=1
	s_or_b64 exec, exec, s[6:7]
	scratch_load_dwordx2 v[0:1], off, off offset:2856 ; 8-byte Folded Reload
	v_add_u32_e32 v20, s38, v20
	v_cmp_le_u32_e32 vcc, s22, v20
	s_or_b64 s[36:37], vcc, s[36:37]
	s_waitcnt vmcnt(0)
	v_add_u32_e32 v0, s40, v0
	scratch_store_dwordx2 off, v[0:1], off offset:2856 ; 8-byte Folded Spill
	s_andn2_b64 exec, exec, s[36:37]
	s_cbranch_execz .LBB45_56
.LBB45_7:                               ; =>This Loop Header: Depth=1
                                        ;     Child Loop BB45_9 Depth 2
                                        ;       Child Loop BB45_11 Depth 3
                                        ;     Child Loop BB45_29 Depth 2
                                        ;     Child Loop BB45_31 Depth 2
	;; [unrolled: 1-line block ×3, first 2 shown]
	scratch_load_dwordx4 v[0:3], off, off offset:2864 ; 16-byte Folded Reload
	s_and_b64 vcc, exec, s[30:31]
	s_waitcnt vmcnt(0)
	scratch_store_dwordx4 off, v[0:3], off offset:48
	scratch_store_dwordx4 off, v[0:3], off offset:32
	;; [unrolled: 1-line block ×3, first 2 shown]
	scratch_store_dwordx4 off, v[0:3], off
	scratch_store_dwordx4 off, v[0:3], off offset:496
	scratch_store_dwordx4 off, v[0:3], off offset:480
	;; [unrolled: 1-line block ×80, first 2 shown]
	s_cbranch_vccz .LBB45_28
; %bb.8:                                ;   in Loop: Header=BB45_7 Depth=1
	scratch_load_dwordx2 v[0:1], off, off offset:2856 ; 8-byte Folded Reload
	s_mov_b32 s18, s4
	s_mov_b32 s19, s4
	;; [unrolled: 1-line block ×15, first 2 shown]
	v_mov_b64_e32 v[78:79], s[18:19]
	v_mov_b64_e32 v[76:77], s[16:17]
	;; [unrolled: 1-line block ×8, first 2 shown]
	scratch_store_dwordx2 off, v[20:21], off offset:1656 ; 8-byte Folded Spill
	s_mov_b32 s41, 0
	s_waitcnt vmcnt(1)
	v_mov_b32_e32 v22, v0
	scratch_store_dwordx2 off, v[22:23], off offset:1520 ; 8-byte Folded Spill
	scratch_store_dwordx4 off, v[64:67], off offset:2208 ; 16-byte Folded Spill
	s_nop 0
	scratch_store_dwordx4 off, v[68:71], off offset:2224 ; 16-byte Folded Spill
	scratch_store_dwordx4 off, v[72:75], off offset:2240 ; 16-byte Folded Spill
	scratch_store_dwordx4 off, v[76:79], off offset:2256 ; 16-byte Folded Spill
	scratch_store_dwordx4 off, v[64:67], off offset:2272 ; 16-byte Folded Spill
	s_nop 0
	scratch_store_dwordx4 off, v[68:71], off offset:2288 ; 16-byte Folded Spill
	scratch_store_dwordx4 off, v[72:75], off offset:2304 ; 16-byte Folded Spill
	scratch_store_dwordx4 off, v[76:79], off offset:2320 ; 16-byte Folded Spill
	;; [unrolled: 5-line block ×4, first 2 shown]
	v_mov_b64_e32 v[102:103], v[78:79]
	v_mov_b64_e32 v[40:41], v[64:65]
	;; [unrolled: 1-line block ×40, first 2 shown]
	scratch_store_dwordx4 off, v[64:67], off offset:1528 ; 16-byte Folded Spill
	s_nop 0
	scratch_store_dwordx4 off, v[68:71], off offset:1544 ; 16-byte Folded Spill
	scratch_store_dwordx4 off, v[72:75], off offset:1560 ; 16-byte Folded Spill
	scratch_store_dwordx4 off, v[76:79], off offset:1576 ; 16-byte Folded Spill
	scratch_store_dwordx4 off, v[64:67], off offset:2080 ; 16-byte Folded Spill
	s_nop 0
	scratch_store_dwordx4 off, v[68:71], off offset:2096 ; 16-byte Folded Spill
	scratch_store_dwordx4 off, v[72:75], off offset:2112 ; 16-byte Folded Spill
	scratch_store_dwordx4 off, v[76:79], off offset:2128 ; 16-byte Folded Spill
	;; [unrolled: 5-line block ×12, first 2 shown]
.LBB45_9:                               ;   Parent Loop BB45_7 Depth=1
                                        ; =>  This Loop Header: Depth=2
                                        ;       Child Loop BB45_11 Depth 3
	scratch_load_dwordx2 v[0:1], off, off offset:2592 ; 8-byte Folded Reload
	s_waitcnt vmcnt(0)
	v_add_u32_e32 v82, s41, v0
	v_cmp_gt_u32_e32 vcc, s20, v82
	s_and_saveexec_b64 s[2:3], vcc
	s_cbranch_execz .LBB45_25
; %bb.10:                               ;   in Loop: Header=BB45_9 Depth=2
	scratch_store_dwordx4 off, v[104:107], off offset:2792 ; 16-byte Folded Spill
	s_nop 0
	scratch_store_dwordx4 off, v[108:111], off offset:2808 ; 16-byte Folded Spill
	scratch_store_dwordx4 off, v[112:115], off offset:2824 ; 16-byte Folded Spill
	;; [unrolled: 1-line block ×3, first 2 shown]
	scratch_load_dwordx2 v[0:1], off, off offset:1520 ; 8-byte Folded Reload
	v_mov_b32_e32 v83, 0x540
	s_mov_b32 s5, 0
	s_mov_b64 s[6:7], 0
	s_waitcnt vmcnt(0) lgkmcnt(0)
	v_lshl_add_u64 v[80:81], s[26:27], 0, v[0:1]
	scratch_load_dwordx2 v[0:1], off, off offset:1656 ; 8-byte Folded Reload
.LBB45_11:                              ;   Parent Loop BB45_7 Depth=1
                                        ;     Parent Loop BB45_9 Depth=2
                                        ; =>    This Inner Loop Header: Depth=3
	global_load_dwordx4 v[84:87], v[80:81], off nt
	s_add_i32 s10, s5, 1
	s_cmp_gt_u32 s5, 5
	s_cselect_b64 s[8:9], -1, 0
	v_lshl_add_u64 v[80:81], v[80:81], 0, s[34:35]
	s_mov_b32 s5, s10
	s_waitcnt vmcnt(0)
	scratch_store_dwordx4 v83, v[84:87], off
	s_nop 1
	v_add_u32_e32 v84, s10, v0
	v_cmp_le_u32_e32 vcc, s22, v84
	s_or_b64 s[8:9], s[8:9], vcc
	s_and_b64 s[8:9], exec, s[8:9]
	v_add_u32_e32 v83, 16, v83
	s_or_b64 s[6:7], s[8:9], s[6:7]
	s_andn2_b64 exec, exec, s[6:7]
	s_cbranch_execnz .LBB45_11
; %bb.12:                               ;   in Loop: Header=BB45_9 Depth=2
	s_or_b64 exec, exec, s[6:7]
	v_cmp_lt_u32_e32 vcc, s21, v82
                                        ; implicit-def: $vgpr56_vgpr57
	s_and_saveexec_b64 s[6:7], vcc
	s_xor_b64 s[6:7], exec, s[6:7]
	s_cbranch_execz .LBB45_14
; %bb.13:                               ;   in Loop: Header=BB45_9 Depth=2
	global_load_dwordx4 v[56:59], v82, s[24:25]
.LBB45_14:                              ;   in Loop: Header=BB45_9 Depth=2
	s_andn2_saveexec_b64 s[6:7], s[6:7]
	s_cbranch_execz .LBB45_16
; %bb.15:                               ;   in Loop: Header=BB45_9 Depth=2
	s_waitcnt vmcnt(0)
	ds_read_b128 v[56:59], v82
.LBB45_16:                              ;   in Loop: Header=BB45_9 Depth=2
	s_or_b64 exec, exec, s[6:7]
	v_add_u32_e32 v80, s20, v82
	v_cmp_lt_u32_e32 vcc, s21, v80
                                        ; implicit-def: $vgpr0_vgpr1
	scratch_store_dwordx4 off, v[0:3], off offset:2064 ; 16-byte Folded Spill
	s_and_saveexec_b64 s[6:7], vcc
	s_xor_b64 s[6:7], exec, s[6:7]
	s_cbranch_execz .LBB45_18
; %bb.17:                               ;   in Loop: Header=BB45_9 Depth=2
	global_load_dwordx4 v[18:21], v80, s[24:25]
	s_waitcnt vmcnt(0)
	scratch_store_dwordx4 off, v[18:21], off offset:2064 ; 16-byte Folded Spill
.LBB45_18:                              ;   in Loop: Header=BB45_9 Depth=2
	s_andn2_saveexec_b64 s[6:7], s[6:7]
	s_cbranch_execz .LBB45_20
; %bb.19:                               ;   in Loop: Header=BB45_9 Depth=2
	ds_read_b128 v[18:21], v80
	s_waitcnt lgkmcnt(0)
	scratch_store_dwordx4 off, v[18:21], off offset:2064 ; 16-byte Folded Spill
.LBB45_20:                              ;   in Loop: Header=BB45_9 Depth=2
	s_or_b64 exec, exec, s[6:7]
	v_add_u32_e32 v84, s20, v80
	v_cmp_lt_u32_e32 vcc, s21, v84
                                        ; implicit-def: $vgpr0_vgpr1
	scratch_store_dwordx4 off, v[0:3], off offset:2048 ; 16-byte Folded Spill
	s_and_saveexec_b64 s[6:7], vcc
	s_xor_b64 s[6:7], exec, s[6:7]
	s_cbranch_execz .LBB45_22
; %bb.21:                               ;   in Loop: Header=BB45_9 Depth=2
	global_load_dwordx4 v[18:21], v84, s[24:25]
                                        ; implicit-def: $vgpr84
	s_waitcnt vmcnt(0)
	scratch_store_dwordx4 off, v[18:21], off offset:2048 ; 16-byte Folded Spill
.LBB45_22:                              ;   in Loop: Header=BB45_9 Depth=2
	s_or_saveexec_b64 s[6:7], s[6:7]
	scratch_store_dwordx4 off, v[2:5], off offset:1592 ; 16-byte Folded Spill
	s_nop 0
	scratch_store_dwordx4 off, v[6:9], off offset:1608 ; 16-byte Folded Spill
	scratch_store_dwordx4 off, v[10:13], off offset:1624 ; 16-byte Folded Spill
	scratch_store_dwordx4 off, v[14:17], off offset:1640 ; 16-byte Folded Spill
	scratch_store_dwordx4 off, v[24:27], off offset:2728 ; 16-byte Folded Spill
	s_nop 0
	scratch_store_dwordx4 off, v[28:31], off offset:2744 ; 16-byte Folded Spill
	scratch_store_dwordx4 off, v[32:35], off offset:2760 ; 16-byte Folded Spill
	scratch_store_dwordx4 off, v[36:39], off offset:2776 ; 16-byte Folded Spill
	;; [unrolled: 5-line block ×4, first 2 shown]
	s_xor_b64 exec, exec, s[6:7]
	s_cbranch_execz .LBB45_24
; %bb.23:                               ;   in Loop: Header=BB45_9 Depth=2
	ds_read_b128 v[0:3], v84
	s_waitcnt lgkmcnt(0)
	scratch_store_dwordx4 off, v[0:3], off offset:2048 ; 16-byte Folded Spill
.LBB45_24:                              ;   in Loop: Header=BB45_9 Depth=2
	s_or_b64 exec, exec, s[6:7]
	scratch_load_dwordx4 v[116:119], off, off offset:1344
	scratch_load_dwordx4 v[96:99], off, off offset:1360
	scratch_load_dwordx4 v[80:83], off, off offset:2080 ; 16-byte Folded Reload
	scratch_load_dwordx4 v[84:87], off, off offset:2096 ; 16-byte Folded Reload
	;; [unrolled: 1-line block ×8, first 2 shown]
	s_waitcnt vmcnt(4) lgkmcnt(0)
	v_mfma_f32_32x32x16_fp8_fp8 v[80:95], v[56:57], v[116:117], v[80:95]
	s_waitcnt vmcnt(0)
	v_mfma_f32_32x32x16_fp8_fp8 v[0:15], v[56:57], v[96:97], v[0:15]
	s_nop 7
	s_nop 2
	scratch_store_dwordx4 off, v[0:3], off offset:1528 ; 16-byte Folded Spill
	s_nop 0
	scratch_store_dwordx4 off, v[4:7], off offset:1544 ; 16-byte Folded Spill
	scratch_store_dwordx4 off, v[8:11], off offset:1560 ; 16-byte Folded Spill
	;; [unrolled: 1-line block ×3, first 2 shown]
	v_mfma_f32_32x32x16_fp8_fp8 v[80:95], v[58:59], v[118:119], v[80:95]
	scratch_load_dwordx4 v[60:63], off, off offset:1376
	scratch_load_dwordx4 v[48:51], off, off offset:1392
	scratch_load_dwordx4 v[100:103], off, off offset:2400 ; 16-byte Folded Reload
	scratch_load_dwordx4 v[104:107], off, off offset:2416 ; 16-byte Folded Reload
	;; [unrolled: 1-line block ×8, first 2 shown]
	scratch_load_dwordx4 v[120:123], off, off offset:1408
	scratch_load_dwordx4 v[52:55], off, off offset:1424
	scratch_load_dwordx4 v[64:67], off, off offset:2272 ; 16-byte Folded Reload
	scratch_load_dwordx4 v[68:71], off, off offset:2288 ; 16-byte Folded Reload
	;; [unrolled: 1-line block ×8, first 2 shown]
	scratch_load_dwordx4 v[124:127], off, off offset:1440
	scratch_load_dwordx4 v[0:3], off, off offset:2144 ; 16-byte Folded Reload
	scratch_load_dwordx4 v[4:7], off, off offset:2160 ; 16-byte Folded Reload
	;; [unrolled: 1-line block ×4, first 2 shown]
	s_nop 0
	scratch_store_dwordx4 off, v[80:83], off offset:2080 ; 16-byte Folded Spill
	s_nop 0
	scratch_store_dwordx4 off, v[84:87], off offset:2096 ; 16-byte Folded Spill
	scratch_store_dwordx4 off, v[88:91], off offset:2112 ; 16-byte Folded Spill
	;; [unrolled: 1-line block ×3, first 2 shown]
	scratch_load_dwordx4 v[80:83], off, off offset:1528 ; 16-byte Folded Reload
	s_nop 0
	scratch_load_dwordx4 v[84:87], off, off offset:1544 ; 16-byte Folded Reload
	scratch_load_dwordx4 v[88:91], off, off offset:1560 ; 16-byte Folded Reload
	;; [unrolled: 1-line block ×3, first 2 shown]
	s_waitcnt vmcnt(27)
	v_mfma_f32_32x32x16_fp8_fp8 v[100:115], v[56:57], v[60:61], v[100:115]
	s_waitcnt vmcnt(0)
	v_mfma_f32_32x32x16_fp8_fp8 v[80:95], v[58:59], v[98:99], v[80:95]
	s_nop 7
	s_nop 2
	scratch_store_dwordx4 off, v[80:83], off offset:1528 ; 16-byte Folded Spill
	s_nop 0
	scratch_store_dwordx4 off, v[84:87], off offset:1544 ; 16-byte Folded Spill
	scratch_store_dwordx4 off, v[88:91], off offset:1560 ; 16-byte Folded Spill
	;; [unrolled: 1-line block ×3, first 2 shown]
	s_nop 0
	v_mov_b64_e32 v[90:91], v[62:63]
	v_mfma_f32_32x32x16_fp8_fp8 v[32:47], v[56:57], v[48:49], v[32:47]
	v_mov_b64_e32 v[88:89], v[60:61]
	v_mov_b64_e32 v[86:87], v[50:51]
	v_mov_b64_e32 v[84:85], v[48:49]
	v_mfma_f32_32x32x16_fp8_fp8 v[100:115], v[58:59], v[90:91], v[100:115]
	s_nop 7
	s_nop 2
	scratch_store_dwordx4 off, v[100:103], off offset:2400 ; 16-byte Folded Spill
	s_nop 0
	scratch_store_dwordx4 off, v[104:107], off offset:2416 ; 16-byte Folded Spill
	scratch_store_dwordx4 off, v[108:111], off offset:2432 ; 16-byte Folded Spill
	;; [unrolled: 1-line block ×3, first 2 shown]
	v_mfma_f32_32x32x16_fp8_fp8 v[64:79], v[56:57], v[120:121], v[64:79]
	s_nop 0
	v_mov_b64_e32 v[114:115], v[54:55]
	v_mov_b64_e32 v[112:113], v[52:53]
	v_mfma_f32_32x32x16_fp8_fp8 v[16:31], v[56:57], v[52:53], v[16:31]
	v_mfma_f32_32x32x16_fp8_fp8 v[0:15], v[56:57], v[124:125], v[0:15]
	;; [unrolled: 1-line block ×3, first 2 shown]
	s_nop 7
	s_nop 2
	scratch_store_dwordx4 off, v[32:35], off offset:2336 ; 16-byte Folded Spill
	s_nop 0
	scratch_store_dwordx4 off, v[36:39], off offset:2352 ; 16-byte Folded Spill
	scratch_store_dwordx4 off, v[40:43], off offset:2368 ; 16-byte Folded Spill
	scratch_store_dwordx4 off, v[44:47], off offset:2384 ; 16-byte Folded Spill
	v_mfma_f32_32x32x16_fp8_fp8 v[64:79], v[58:59], v[122:123], v[64:79]
	s_nop 7
	s_nop 2
	scratch_store_dwordx4 off, v[64:67], off offset:2272 ; 16-byte Folded Spill
	s_nop 0
	scratch_store_dwordx4 off, v[68:71], off offset:2288 ; 16-byte Folded Spill
	scratch_store_dwordx4 off, v[72:75], off offset:2304 ; 16-byte Folded Spill
	scratch_store_dwordx4 off, v[76:79], off offset:2320 ; 16-byte Folded Spill
	v_mfma_f32_32x32x16_fp8_fp8 v[16:31], v[58:59], v[114:115], v[16:31]
	;; [unrolled: 8-line block ×3, first 2 shown]
	s_nop 7
	s_nop 2
	scratch_store_dwordx4 off, v[0:3], off offset:2144 ; 16-byte Folded Spill
	s_nop 0
	scratch_store_dwordx4 off, v[4:7], off offset:2160 ; 16-byte Folded Spill
	scratch_store_dwordx4 off, v[8:11], off offset:2176 ; 16-byte Folded Spill
	;; [unrolled: 1-line block ×3, first 2 shown]
	scratch_load_dwordx4 v[16:19], off, off offset:1856 ; 16-byte Folded Reload
	scratch_load_dwordx4 v[20:23], off, off offset:1872 ; 16-byte Folded Reload
	scratch_load_dwordx4 v[24:27], off, off offset:1888 ; 16-byte Folded Reload
	scratch_load_dwordx4 v[28:31], off, off offset:1904 ; 16-byte Folded Reload
	scratch_load_dwordx4 v[108:111], off, off offset:2064 ; 16-byte Folded Reload
	scratch_load_dwordx4 v[0:3], off, off offset:1792 ; 16-byte Folded Reload
	scratch_load_dwordx4 v[4:7], off, off offset:1808 ; 16-byte Folded Reload
	scratch_load_dwordx4 v[8:11], off, off offset:1824 ; 16-byte Folded Reload
	scratch_load_dwordx4 v[12:15], off, off offset:1840 ; 16-byte Folded Reload
	v_mov_b64_e32 v[32:33], v[96:97]
	v_mov_b64_e32 v[34:35], v[98:99]
	s_waitcnt vmcnt(0)
	v_mfma_f32_32x32x16_fp8_fp8 v[0:15], v[108:109], v[96:97], v[0:15]
	s_nop 7
	s_nop 2
	v_mov_b64_e32 v[106:107], v[14:15]
	v_mov_b64_e32 v[104:105], v[12:13]
	;; [unrolled: 1-line block ×8, first 2 shown]
	scratch_load_dwordx4 v[0:3], off, off offset:1728 ; 16-byte Folded Reload
	scratch_load_dwordx4 v[4:7], off, off offset:1744 ; 16-byte Folded Reload
	;; [unrolled: 1-line block ×4, first 2 shown]
	v_mfma_f32_32x32x16_fp8_fp8 v[16:31], v[108:109], v[116:117], v[16:31]
	s_waitcnt vmcnt(0)
	v_mfma_f32_32x32x16_fp8_fp8 v[0:15], v[108:109], v[88:89], v[0:15]
	s_nop 7
	s_nop 2
	v_mov_b64_e32 v[66:67], v[14:15]
	v_mov_b64_e32 v[64:65], v[12:13]
	;; [unrolled: 1-line block ×8, first 2 shown]
	scratch_load_dwordx4 v[0:3], off, off offset:1664 ; 16-byte Folded Reload
	scratch_load_dwordx4 v[4:7], off, off offset:1680 ; 16-byte Folded Reload
	;; [unrolled: 1-line block ×4, first 2 shown]
	s_waitcnt vmcnt(0)
	v_mfma_f32_32x32x16_fp8_fp8 v[0:15], v[108:109], v[48:49], v[0:15]
	scratch_load_dwordx4 v[68:71], off, off offset:1984 ; 16-byte Folded Reload
	scratch_load_dwordx4 v[72:75], off, off offset:2000 ; 16-byte Folded Reload
	;; [unrolled: 1-line block ×4, first 2 shown]
	s_nop 6
	v_mov_b64_e32 v[50:51], v[14:15]
	v_mov_b64_e32 v[48:49], v[12:13]
	;; [unrolled: 1-line block ×8, first 2 shown]
	scratch_load_dwordx4 v[0:3], off, off offset:1456 ; 16-byte Folded Reload
	scratch_load_dwordx4 v[4:7], off, off offset:1472 ; 16-byte Folded Reload
	;; [unrolled: 1-line block ×4, first 2 shown]
	s_waitcnt vmcnt(4)
	v_mfma_f32_32x32x16_fp8_fp8 v[68:83], v[108:109], v[120:121], v[68:83]
	s_waitcnt vmcnt(0)
	v_mfma_f32_32x32x16_fp8_fp8 v[0:15], v[108:109], v[112:113], v[0:15]
	s_nop 7
	s_nop 2
	scratch_store_dwordx4 off, v[0:3], off offset:1456 ; 16-byte Folded Spill
	s_nop 0
	scratch_store_dwordx4 off, v[4:7], off offset:1472 ; 16-byte Folded Spill
	scratch_store_dwordx4 off, v[8:11], off offset:1488 ; 16-byte Folded Spill
	;; [unrolled: 1-line block ×3, first 2 shown]
	v_mfma_f32_32x32x16_fp8_fp8 v[16:31], v[110:111], v[118:119], v[16:31]
	scratch_load_dwordx4 v[0:3], off, off offset:1920 ; 16-byte Folded Reload
	scratch_load_dwordx4 v[4:7], off, off offset:1936 ; 16-byte Folded Reload
	;; [unrolled: 1-line block ×4, first 2 shown]
	s_nop 6
	scratch_store_dwordx4 off, v[16:19], off offset:1856 ; 16-byte Folded Spill
	s_nop 0
	scratch_store_dwordx4 off, v[20:23], off offset:1872 ; 16-byte Folded Spill
	scratch_store_dwordx4 off, v[24:27], off offset:1888 ; 16-byte Folded Spill
	scratch_store_dwordx4 off, v[28:31], off offset:1904 ; 16-byte Folded Spill
	v_mfma_f32_32x32x16_fp8_fp8 v[92:107], v[110:111], v[34:35], v[92:107]
	s_nop 7
	s_nop 2
	scratch_store_dwordx4 off, v[92:95], off offset:1792 ; 16-byte Folded Spill
	s_nop 0
	scratch_store_dwordx4 off, v[96:99], off offset:1808 ; 16-byte Folded Spill
	scratch_store_dwordx4 off, v[100:103], off offset:1824 ; 16-byte Folded Spill
	scratch_store_dwordx4 off, v[104:107], off offset:1840 ; 16-byte Folded Spill
	v_mfma_f32_32x32x16_fp8_fp8 v[52:67], v[110:111], v[90:91], v[52:67]
	s_nop 7
	;; [unrolled: 8-line block ×4, first 2 shown]
	s_nop 2
	scratch_store_dwordx4 off, v[68:71], off offset:1984 ; 16-byte Folded Spill
	s_nop 0
	scratch_store_dwordx4 off, v[72:75], off offset:2000 ; 16-byte Folded Spill
	scratch_store_dwordx4 off, v[76:79], off offset:2016 ; 16-byte Folded Spill
	;; [unrolled: 1-line block ×3, first 2 shown]
	scratch_load_dwordx4 v[36:39], off, off offset:1456 ; 16-byte Folded Reload
	scratch_load_dwordx4 v[40:43], off, off offset:1472 ; 16-byte Folded Reload
	;; [unrolled: 1-line block ×4, first 2 shown]
	s_waitcnt vmcnt(24)
	v_mfma_f32_32x32x16_fp8_fp8 v[0:15], v[108:109], v[124:125], v[0:15]
	v_mov_b64_e32 v[24:25], v[84:85]
	v_mov_b64_e32 v[16:17], v[112:113]
	;; [unrolled: 1-line block ×4, first 2 shown]
	s_waitcnt vmcnt(0)
	v_mfma_f32_32x32x16_fp8_fp8 v[36:51], v[110:111], v[114:115], v[36:51]
	s_nop 7
	s_nop 2
	scratch_store_dwordx4 off, v[36:39], off offset:1456 ; 16-byte Folded Spill
	s_nop 0
	scratch_store_dwordx4 off, v[40:43], off offset:1472 ; 16-byte Folded Spill
	scratch_store_dwordx4 off, v[44:47], off offset:1488 ; 16-byte Folded Spill
	;; [unrolled: 1-line block ×3, first 2 shown]
	v_mfma_f32_32x32x16_fp8_fp8 v[0:15], v[110:111], v[126:127], v[0:15]
	s_nop 7
	s_nop 2
	scratch_store_dwordx4 off, v[0:3], off offset:1920 ; 16-byte Folded Spill
	s_nop 0
	scratch_store_dwordx4 off, v[4:7], off offset:1936 ; 16-byte Folded Spill
	scratch_store_dwordx4 off, v[8:11], off offset:1952 ; 16-byte Folded Spill
	scratch_store_dwordx4 off, v[12:15], off offset:1968 ; 16-byte Folded Spill
	scratch_load_dwordx4 v[56:59], off, off offset:2528 ; 16-byte Folded Reload
	scratch_load_dwordx4 v[60:63], off, off offset:2544 ; 16-byte Folded Reload
	;; [unrolled: 1-line block ×5, first 2 shown]
	s_waitcnt vmcnt(0)
	v_mfma_f32_32x32x16_fp8_fp8 v[56:71], v[20:21], v[116:117], v[56:71]
	v_mov_b64_e32 v[0:1], v[24:25]
	v_mov_b64_e32 v[2:3], v[26:27]
	v_mfma_f32_32x32x16_fp8_fp8 v[56:71], v[22:23], v[118:119], v[56:71]
	scratch_load_dwordx4 v[104:107], off, off offset:2464 ; 16-byte Folded Reload
	scratch_load_dwordx4 v[108:111], off, off offset:2480 ; 16-byte Folded Reload
	;; [unrolled: 1-line block ×8, first 2 shown]
	s_waitcnt vmcnt(0)
	v_mfma_f32_32x32x16_fp8_fp8 v[72:87], v[20:21], v[88:89], v[72:87]
	v_mfma_f32_32x32x16_fp8_fp8 v[72:87], v[22:23], v[90:91], v[72:87]
	s_nop 7
	s_nop 2
	scratch_store_dwordx4 off, v[72:75], off offset:1592 ; 16-byte Folded Spill
	s_nop 0
	scratch_store_dwordx4 off, v[76:79], off offset:1608 ; 16-byte Folded Spill
	scratch_store_dwordx4 off, v[80:83], off offset:1624 ; 16-byte Folded Spill
	;; [unrolled: 1-line block ×3, first 2 shown]
	scratch_load_dwordx4 v[72:75], off, off offset:2792 ; 16-byte Folded Reload
	s_nop 0
	scratch_load_dwordx4 v[76:79], off, off offset:2808 ; 16-byte Folded Reload
	scratch_load_dwordx4 v[80:83], off, off offset:2824 ; 16-byte Folded Reload
	;; [unrolled: 1-line block ×3, first 2 shown]
	v_mfma_f32_32x32x16_fp8_fp8 v[104:119], v[20:21], v[32:33], v[104:119]
	v_mfma_f32_32x32x16_fp8_fp8 v[104:119], v[22:23], v[34:35], v[104:119]
	scratch_load_dwordx4 v[24:27], off, off offset:2728 ; 16-byte Folded Reload
	scratch_load_dwordx4 v[28:31], off, off offset:2744 ; 16-byte Folded Reload
	;; [unrolled: 1-line block ×12, first 2 shown]
	s_waitcnt vmcnt(12)
	v_mfma_f32_32x32x16_fp8_fp8 v[72:87], v[20:21], v[0:1], v[72:87]
	v_mfma_f32_32x32x16_fp8_fp8 v[72:87], v[22:23], v[2:3], v[72:87]
	v_mov_b64_e32 v[0:1], v[16:17]
	v_mov_b64_e32 v[2:3], v[18:19]
	s_waitcnt vmcnt(4)
	v_mfma_f32_32x32x16_fp8_fp8 v[40:55], v[20:21], v[0:1], v[40:55]
	v_mfma_f32_32x32x16_fp8_fp8 v[40:55], v[22:23], v[2:3], v[40:55]
	scratch_load_dwordx4 v[0:3], off, off offset:1856 ; 16-byte Folded Reload
	scratch_load_dwordx4 v[4:7], off, off offset:1872 ; 16-byte Folded Reload
	;; [unrolled: 1-line block ×4, first 2 shown]
	s_waitcnt vmcnt(0)
	scratch_store_dwordx4 off, v[12:15], off offset:496
	scratch_store_dwordx4 off, v[8:11], off offset:480
	scratch_store_dwordx4 off, v[4:7], off offset:464
	scratch_store_dwordx4 off, v[0:3], off offset:448
	scratch_load_dwordx4 v[0:3], off, off offset:1792 ; 16-byte Folded Reload
	s_nop 0
	scratch_load_dwordx4 v[4:7], off, off offset:1808 ; 16-byte Folded Reload
	scratch_load_dwordx4 v[8:11], off, off offset:1824 ; 16-byte Folded Reload
	scratch_load_dwordx4 v[12:15], off, off offset:1840 ; 16-byte Folded Reload
	s_waitcnt vmcnt(0)
	scratch_store_dwordx4 off, v[12:15], off offset:560
	scratch_store_dwordx4 off, v[8:11], off offset:544
	scratch_store_dwordx4 off, v[4:7], off offset:528
	scratch_store_dwordx4 off, v[0:3], off offset:512
	scratch_load_dwordx4 v[0:3], off, off offset:1728 ; 16-byte Folded Reload
	s_nop 0
	scratch_load_dwordx4 v[4:7], off, off offset:1744 ; 16-byte Folded Reload
	scratch_load_dwordx4 v[8:11], off, off offset:1760 ; 16-byte Folded Reload
	scratch_load_dwordx4 v[12:15], off, off offset:1776 ; 16-byte Folded Reload
	;; [unrolled: 10-line block ×6, first 2 shown]
	s_waitcnt vmcnt(0)
	scratch_store_dwordx4 off, v[12:15], off offset:880
	scratch_store_dwordx4 off, v[8:11], off offset:864
	;; [unrolled: 1-line block ×7, first 2 shown]
	scratch_store_dwordx4 off, v[56:59], off offset:2528 ; 16-byte Folded Spill
	s_nop 0
	scratch_store_dwordx4 off, v[60:63], off offset:2544 ; 16-byte Folded Spill
	scratch_store_dwordx4 off, v[64:67], off offset:2560 ; 16-byte Folded Spill
	;; [unrolled: 1-line block ×3, first 2 shown]
	scratch_store_dwordx4 off, v[56:59], off offset:896
	scratch_load_dwordx4 v[2:5], off, off offset:1592 ; 16-byte Folded Reload
	scratch_load_dwordx4 v[6:9], off, off offset:1608 ; 16-byte Folded Reload
	;; [unrolled: 1-line block ×4, first 2 shown]
	v_mfma_f32_32x32x16_fp8_fp8 v[24:39], v[20:21], v[120:121], v[24:39]
	scratch_store_dwordx4 off, v[116:119], off offset:1008
	scratch_store_dwordx4 off, v[112:115], off offset:992
	;; [unrolled: 1-line block ×3, first 2 shown]
	scratch_store_dwordx4 off, v[104:107], off offset:2464 ; 16-byte Folded Spill
	s_nop 0
	scratch_store_dwordx4 off, v[108:111], off offset:2480 ; 16-byte Folded Spill
	scratch_store_dwordx4 off, v[112:115], off offset:2496 ; 16-byte Folded Spill
	;; [unrolled: 1-line block ×3, first 2 shown]
	scratch_store_dwordx4 off, v[104:107], off offset:960
	s_nop 0
	v_mov_b64_e32 v[118:119], v[86:87]
	v_mov_b64_e32 v[116:117], v[84:85]
	;; [unrolled: 1-line block ×5, first 2 shown]
	v_mfma_f32_32x32x16_fp8_fp8 v[88:103], v[20:21], v[124:125], v[88:103]
	v_mov_b64_e32 v[108:109], v[76:77]
	v_mov_b64_e32 v[106:107], v[74:75]
	v_mov_b64_e32 v[104:105], v[72:73]
	v_mfma_f32_32x32x16_fp8_fp8 v[24:39], v[22:23], v[122:123], v[24:39]
	v_mfma_f32_32x32x16_fp8_fp8 v[88:103], v[22:23], v[126:127], v[88:103]
	s_waitcnt vmcnt(8)
	scratch_store_dwordx4 off, v[14:17], off offset:1072
	scratch_store_dwordx4 off, v[10:13], off offset:1056
	;; [unrolled: 1-line block ×8, first 2 shown]
	s_nop 0
	scratch_store_dwordx4 off, v[36:39], off offset:1200
	scratch_store_dwordx4 off, v[32:35], off offset:1184
	;; [unrolled: 1-line block ×12, first 2 shown]
.LBB45_25:                              ;   in Loop: Header=BB45_9 Depth=2
	s_or_b64 exec, exec, s[2:3]
	scratch_load_dwordx2 v[22:23], off, off offset:1520 ; 8-byte Folded Reload
	scratch_load_dwordx2 v[20:21], off, off offset:1656 ; 8-byte Folded Reload
	s_addk_i32 s41, 0x400
	s_cmp_ge_u32 s41, s20
	s_waitcnt vmcnt(1)
	v_add_u32_e32 v22, 0x400, v22
	s_cbranch_scc1 .LBB45_27
; %bb.26:                               ;   in Loop: Header=BB45_9 Depth=2
	scratch_store_dwordx2 off, v[22:23], off offset:1520 ; 8-byte Folded Spill
	s_branch .LBB45_9
.LBB45_27:                              ;   in Loop: Header=BB45_7 Depth=1
	scratch_load_dwordx4 v[0:3], off, off offset:2400 ; 16-byte Folded Reload
	scratch_load_dwordx4 v[4:7], off, off offset:2416 ; 16-byte Folded Reload
	;; [unrolled: 1-line block ×4, first 2 shown]
	s_waitcnt vmcnt(0)
	scratch_store_dwordx4 off, v[12:15], off offset:176
	scratch_store_dwordx4 off, v[8:11], off offset:160
	scratch_store_dwordx4 off, v[4:7], off offset:144
	scratch_store_dwordx4 off, v[0:3], off offset:128
	scratch_load_dwordx4 v[0:3], off, off offset:2336 ; 16-byte Folded Reload
	s_nop 0
	scratch_load_dwordx4 v[4:7], off, off offset:2352 ; 16-byte Folded Reload
	scratch_load_dwordx4 v[8:11], off, off offset:2368 ; 16-byte Folded Reload
	scratch_load_dwordx4 v[12:15], off, off offset:2384 ; 16-byte Folded Reload
	s_waitcnt vmcnt(0)
	scratch_store_dwordx4 off, v[12:15], off offset:240
	scratch_store_dwordx4 off, v[8:11], off offset:224
	scratch_store_dwordx4 off, v[4:7], off offset:208
	scratch_store_dwordx4 off, v[0:3], off offset:192
	scratch_load_dwordx4 v[0:3], off, off offset:2272 ; 16-byte Folded Reload
	s_nop 0
	scratch_load_dwordx4 v[4:7], off, off offset:2288 ; 16-byte Folded Reload
	scratch_load_dwordx4 v[8:11], off, off offset:2304 ; 16-byte Folded Reload
	scratch_load_dwordx4 v[12:15], off, off offset:2320 ; 16-byte Folded Reload
	;; [unrolled: 10-line block ×5, first 2 shown]
	s_waitcnt vmcnt(0)
	scratch_store_dwordx4 off, v[12:15], off offset:48
	scratch_store_dwordx4 off, v[8:11], off offset:32
	;; [unrolled: 1-line block ×3, first 2 shown]
	scratch_store_dwordx4 off, v[0:3], off
	scratch_load_dwordx4 v[0:3], off, off offset:1528 ; 16-byte Folded Reload
	s_nop 0
	scratch_load_dwordx4 v[4:7], off, off offset:1544 ; 16-byte Folded Reload
	scratch_load_dwordx4 v[8:11], off, off offset:1560 ; 16-byte Folded Reload
	scratch_load_dwordx4 v[12:15], off, off offset:1576 ; 16-byte Folded Reload
	s_waitcnt vmcnt(0)
	scratch_store_dwordx4 off, v[12:15], off offset:112
	scratch_store_dwordx4 off, v[8:11], off offset:96
	;; [unrolled: 1-line block ×4, first 2 shown]
	scratch_load_dword v21, off, off offset:2880 ; 4-byte Folded Reload
.LBB45_28:                              ;   in Loop: Header=BB45_7 Depth=1
	s_mov_b32 s2, 0
.LBB45_29:                              ;   Parent Loop BB45_7 Depth=1
                                        ; =>  This Inner Loop Header: Depth=2
	s_add_i32 s3, s2, 0
	scratch_load_dwordx4 v[0:3], off, s3 offset:48
	scratch_load_dwordx4 v[4:7], off, s3 offset:32
	scratch_load_dwordx4 v[8:11], off, s3
	scratch_load_dwordx4 v[12:15], off, s3 offset:16
	s_add_i32 s2, s2, 64
	s_cmpk_lg_i32 s2, 0x1c0
	s_waitcnt vmcnt(2)
	;;#ASMSTART
	v_add_f32 v4, v5, v4 row_shl:1 bound_ctrl:0 
	;;#ASMEND
	s_nop 0
	;;#ASMSTART
	v_add_f32 v4, v6, v4 row_shl:2 bound_ctrl:0 
	;;#ASMEND
	s_waitcnt vmcnt(1)
	;;#ASMSTART
	v_add_f32 v8, v9, v8 row_shl:1 bound_ctrl:0 
	;;#ASMEND
	;;#ASMSTART
	v_add_f32 v4, v7, v4 row_shl:3 bound_ctrl:0 
	;;#ASMEND
	s_nop 0
	;;#ASMSTART
	v_add_f32 v8, v10, v8 row_shl:2 bound_ctrl:0 
	;;#ASMEND
	;;#ASMSTART
	v_add_f32 v4, v0, v4 row_shl:8 bound_ctrl:0 
	;;#ASMEND
	s_nop 0
	;;#ASMSTART
	v_add_f32 v8, v11, v8 row_shl:3 bound_ctrl:0 
	;;#ASMEND
	;;#ASMSTART
	v_add_f32 v4, v1, v4 row_shl:9 bound_ctrl:0 
	;;#ASMEND
	s_waitcnt vmcnt(0)
	;;#ASMSTART
	v_add_f32 v8, v12, v8 row_shl:8 bound_ctrl:0 
	;;#ASMEND
	;;#ASMSTART
	v_add_f32 v4, v2, v4 row_shl:10 bound_ctrl:0 
	;;#ASMEND
	s_nop 0
	;;#ASMSTART
	v_add_f32 v8, v13, v8 row_shl:9 bound_ctrl:0 
	;;#ASMEND
	;;#ASMSTART
	v_add_f32 v4, v3, v4 row_shl:11 bound_ctrl:0 
	;;#ASMEND
	ds_bpermute_b32 v0, v21, v4 offset:208
	;;#ASMSTART
	v_add_f32 v8, v14, v8 row_shl:10 bound_ctrl:0 
	;;#ASMEND
	s_waitcnt lgkmcnt(0)
	v_add_f32_e32 v0, v4, v0
	;;#ASMSTART
	v_add_f32 v8, v15, v8 row_shl:11 bound_ctrl:0 
	;;#ASMEND
	ds_bpermute_b32 v1, v21, v8 offset:144
	ds_bpermute_b32 v0, v21, v0 offset:64
	s_waitcnt lgkmcnt(1)
	v_add_f32_e32 v1, v8, v1
	s_waitcnt lgkmcnt(0)
	v_add_f32_e32 v0, v1, v0
	scratch_store_dword off, v0, s3
	s_cbranch_scc1 .LBB45_29
; %bb.30:                               ;   in Loop: Header=BB45_7 Depth=1
	v_or_b32_e32 v0, 0x90, v21
	v_or_b32_e32 v1, 0xd0, v21
	;; [unrolled: 1-line block ×3, first 2 shown]
	s_movk_i32 s2, 0x1c0
.LBB45_31:                              ;   Parent Loop BB45_7 Depth=1
                                        ; =>  This Inner Loop Header: Depth=2
	s_add_i32 s3, s2, 0
	scratch_load_dwordx4 v[4:7], off, s3 offset:48
	scratch_load_dwordx4 v[8:11], off, s3 offset:32
	scratch_load_dwordx4 v[12:15], off, s3
	scratch_load_dwordx4 v[16:19], off, s3 offset:16
	s_add_i32 s2, s2, 64
	s_cmpk_lg_i32 s2, 0x380
	s_waitcnt vmcnt(2)
	;;#ASMSTART
	v_add_f32 v8, v9, v8 row_shl:1 bound_ctrl:0 
	;;#ASMEND
	s_nop 0
	;;#ASMSTART
	v_add_f32 v8, v10, v8 row_shl:2 bound_ctrl:0 
	;;#ASMEND
	s_waitcnt vmcnt(1)
	;;#ASMSTART
	v_add_f32 v12, v13, v12 row_shl:1 bound_ctrl:0 
	;;#ASMEND
	;;#ASMSTART
	v_add_f32 v8, v11, v8 row_shl:3 bound_ctrl:0 
	;;#ASMEND
	s_nop 0
	;;#ASMSTART
	v_add_f32 v12, v14, v12 row_shl:2 bound_ctrl:0 
	;;#ASMEND
	;;#ASMSTART
	v_add_f32 v8, v4, v8 row_shl:8 bound_ctrl:0 
	;;#ASMEND
	s_nop 0
	;;#ASMSTART
	v_add_f32 v12, v15, v12 row_shl:3 bound_ctrl:0 
	;;#ASMEND
	;;#ASMSTART
	v_add_f32 v8, v5, v8 row_shl:9 bound_ctrl:0 
	;;#ASMEND
	s_waitcnt vmcnt(0)
	;;#ASMSTART
	v_add_f32 v12, v16, v12 row_shl:8 bound_ctrl:0 
	;;#ASMEND
	;;#ASMSTART
	v_add_f32 v8, v6, v8 row_shl:10 bound_ctrl:0 
	;;#ASMEND
	s_nop 0
	;;#ASMSTART
	v_add_f32 v12, v17, v12 row_shl:9 bound_ctrl:0 
	;;#ASMEND
	;;#ASMSTART
	v_add_f32 v8, v7, v8 row_shl:11 bound_ctrl:0 
	;;#ASMEND
	ds_bpermute_b32 v3, v1, v8
	;;#ASMSTART
	v_add_f32 v12, v18, v12 row_shl:10 bound_ctrl:0 
	;;#ASMEND
	s_waitcnt lgkmcnt(0)
	v_add_f32_e32 v3, v8, v3
	;;#ASMSTART
	v_add_f32 v12, v19, v12 row_shl:11 bound_ctrl:0 
	;;#ASMEND
	ds_bpermute_b32 v4, v0, v12
	ds_bpermute_b32 v3, v2, v3
	s_waitcnt lgkmcnt(1)
	v_add_f32_e32 v4, v12, v4
	s_waitcnt lgkmcnt(0)
	v_add_f32_e32 v3, v4, v3
	scratch_store_dword off, v3, s3
	s_cbranch_scc1 .LBB45_31
; %bb.32:                               ;   in Loop: Header=BB45_7 Depth=1
	s_movk_i32 s2, 0x380
.LBB45_33:                              ;   Parent Loop BB45_7 Depth=1
                                        ; =>  This Inner Loop Header: Depth=2
	s_add_i32 s3, s2, 0
	scratch_load_dwordx4 v[4:7], off, s3 offset:48
	scratch_load_dwordx4 v[8:11], off, s3 offset:32
	scratch_load_dwordx4 v[12:15], off, s3
	scratch_load_dwordx4 v[16:19], off, s3 offset:16
	s_add_i32 s2, s2, 64
	s_cmpk_lg_i32 s2, 0x540
	s_waitcnt vmcnt(2)
	;;#ASMSTART
	v_add_f32 v8, v9, v8 row_shl:1 bound_ctrl:0 
	;;#ASMEND
	s_nop 0
	;;#ASMSTART
	v_add_f32 v8, v10, v8 row_shl:2 bound_ctrl:0 
	;;#ASMEND
	s_waitcnt vmcnt(1)
	;;#ASMSTART
	v_add_f32 v12, v13, v12 row_shl:1 bound_ctrl:0 
	;;#ASMEND
	;;#ASMSTART
	v_add_f32 v8, v11, v8 row_shl:3 bound_ctrl:0 
	;;#ASMEND
	s_nop 0
	;;#ASMSTART
	v_add_f32 v12, v14, v12 row_shl:2 bound_ctrl:0 
	;;#ASMEND
	;;#ASMSTART
	v_add_f32 v8, v4, v8 row_shl:8 bound_ctrl:0 
	;;#ASMEND
	s_nop 0
	;;#ASMSTART
	v_add_f32 v12, v15, v12 row_shl:3 bound_ctrl:0 
	;;#ASMEND
	;;#ASMSTART
	v_add_f32 v8, v5, v8 row_shl:9 bound_ctrl:0 
	;;#ASMEND
	s_waitcnt vmcnt(0)
	;;#ASMSTART
	v_add_f32 v12, v16, v12 row_shl:8 bound_ctrl:0 
	;;#ASMEND
	;;#ASMSTART
	v_add_f32 v8, v6, v8 row_shl:10 bound_ctrl:0 
	;;#ASMEND
	s_nop 0
	;;#ASMSTART
	v_add_f32 v12, v17, v12 row_shl:9 bound_ctrl:0 
	;;#ASMEND
	;;#ASMSTART
	v_add_f32 v8, v7, v8 row_shl:11 bound_ctrl:0 
	;;#ASMEND
	ds_bpermute_b32 v3, v1, v8
	;;#ASMSTART
	v_add_f32 v12, v18, v12 row_shl:10 bound_ctrl:0 
	;;#ASMEND
	s_waitcnt lgkmcnt(0)
	v_add_f32_e32 v3, v8, v3
	;;#ASMSTART
	v_add_f32 v12, v19, v12 row_shl:11 bound_ctrl:0 
	;;#ASMEND
	ds_bpermute_b32 v4, v0, v12
	ds_bpermute_b32 v3, v2, v3
	s_waitcnt lgkmcnt(1)
	v_add_f32_e32 v4, v12, v4
	s_waitcnt lgkmcnt(0)
	v_add_f32_e32 v3, v4, v3
	scratch_store_dword off, v3, s3
	s_cbranch_scc1 .LBB45_33
; %bb.34:                               ;   in Loop: Header=BB45_7 Depth=1
	s_and_saveexec_b64 s[6:7], s[0:1]
	s_cbranch_execz .LBB45_6
; %bb.35:                               ;   in Loop: Header=BB45_7 Depth=1
	scratch_load_dwordx4 v[4:7], off, off
	v_mov_b32_e32 v8, v21
	v_mov_b32_e32 v21, v23
	v_add_u32_e32 v2, 1, v20
	v_lshl_add_u64 v[0:1], v[20:21], 1, s[28:29]
	v_cmp_gt_u32_e32 vcc, s22, v2
	s_waitcnt vmcnt(0)
	v_mul_f32_e32 v3, s23, v4
	v_fma_mixlo_f16 v3, s33, v3, 0
	global_store_short v[0:1], v3, off
	s_and_saveexec_b64 s[8:9], vcc
	s_cbranch_execz .LBB45_42
; %bb.36:                               ;   in Loop: Header=BB45_7 Depth=1
	scratch_load_dwordx4 v[4:7], off, off offset:64
	v_add_u32_e32 v3, 2, v20
	v_cmp_gt_u32_e64 s[2:3], s22, v3
	s_waitcnt vmcnt(0)
	v_mul_f32_e32 v4, s23, v4
	v_fma_mixlo_f16 v4, s33, v4, 0
	global_store_short v[0:1], v4, off offset:2
	s_and_b64 exec, exec, s[2:3]
	s_cbranch_execz .LBB45_42
; %bb.37:                               ;   in Loop: Header=BB45_7 Depth=1
	scratch_load_dwordx4 v[4:7], off, off offset:128
	v_add_u32_e32 v3, 3, v20
	v_cmp_gt_u32_e64 s[2:3], s22, v3
	s_waitcnt vmcnt(0)
	v_mul_f32_e32 v4, s23, v4
	v_fma_mixlo_f16 v4, s33, v4, 0
	global_store_short v[0:1], v4, off offset:4
	s_and_b64 exec, exec, s[2:3]
	;; [unrolled: 10-line block ×5, first 2 shown]
	s_cbranch_execz .LBB45_42
; %bb.41:                               ;   in Loop: Header=BB45_7 Depth=1
	scratch_load_dwordx4 v[4:7], off, off offset:384
	s_waitcnt vmcnt(0)
	v_mul_f32_e32 v3, s23, v4
	v_fma_mixlo_f16 v3, s33, v3, 0
	global_store_short v[0:1], v3, off offset:12
.LBB45_42:                              ;   in Loop: Header=BB45_7 Depth=1
	s_or_b64 exec, exec, s[8:9]
	scratch_load_dwordx4 v[4:7], off, off offset:448
	v_add_u32_e32 v22, s22, v20
	s_waitcnt vmcnt(0)
	v_mul_f32_e32 v0, s23, v4
	v_fma_mixlo_f16 v3, s33, v0, 0
	v_lshl_add_u64 v[0:1], v[22:23], 1, s[28:29]
	global_store_short v[0:1], v3, off
	s_and_saveexec_b64 s[8:9], vcc
	s_cbranch_execz .LBB45_49
; %bb.43:                               ;   in Loop: Header=BB45_7 Depth=1
	scratch_load_dwordx4 v[4:7], off, off offset:512
	s_waitcnt vmcnt(0)
	v_add_u32_e32 v6, s22, v2
	v_mov_b32_e32 v7, v23
	v_add_u32_e32 v0, 2, v20
	v_lshl_add_u64 v[6:7], v[6:7], 1, s[28:29]
	v_cmp_gt_u32_e64 s[2:3], s22, v0
	v_mul_f32_e32 v1, s23, v4
	v_fma_mixlo_f16 v1, s33, v1, 0
	global_store_short v[6:7], v1, off
	s_and_b64 exec, exec, s[2:3]
	s_cbranch_execz .LBB45_49
; %bb.44:                               ;   in Loop: Header=BB45_7 Depth=1
	scratch_load_dwordx4 v[4:7], off, off offset:576
	s_waitcnt vmcnt(0)
	v_add_u32_e32 v6, s22, v0
	v_mov_b32_e32 v7, v23
	v_add_u32_e32 v0, 3, v20
	v_lshl_add_u64 v[6:7], v[6:7], 1, s[28:29]
	v_cmp_gt_u32_e64 s[2:3], s22, v0
	v_mul_f32_e32 v1, s23, v4
	v_fma_mixlo_f16 v1, s33, v1, 0
	global_store_short v[6:7], v1, off
	s_and_b64 exec, exec, s[2:3]
	;; [unrolled: 13-line block ×5, first 2 shown]
	s_cbranch_execz .LBB45_49
; %bb.48:                               ;   in Loop: Header=BB45_7 Depth=1
	scratch_load_dwordx4 v[4:7], off, off offset:832
	v_add_u32_e32 v0, s22, v0
	v_mov_b32_e32 v1, v23
	v_lshl_add_u64 v[0:1], v[0:1], 1, s[28:29]
	s_waitcnt vmcnt(0)
	v_mul_f32_e32 v3, s23, v4
	v_fma_mixlo_f16 v3, s33, v3, 0
	global_store_short v[0:1], v3, off
.LBB45_49:                              ;   in Loop: Header=BB45_7 Depth=1
	s_or_b64 exec, exec, s[8:9]
	scratch_load_dwordx4 v[4:7], off, off offset:896
	v_add_u32_e32 v22, s22, v22
	s_and_b64 s[2:3], exec, vcc
	v_mov_b32_e32 v21, v8
	s_waitcnt vmcnt(0)
	v_mul_f32_e32 v0, s23, v4
	v_fma_mixlo_f16 v3, s33, v0, 0
	v_lshl_add_u64 v[0:1], v[22:23], 1, s[28:29]
	global_store_short v[0:1], v3, off
	s_mov_b64 exec, s[2:3]
	s_cbranch_execz .LBB45_6
; %bb.50:                               ;   in Loop: Header=BB45_7 Depth=1
	scratch_load_dwordx4 v[4:7], off, off offset:960
	v_add_u32_e32 v22, s39, v2
	v_add_u32_e32 v0, 2, v20
	s_waitcnt vmcnt(0)
	v_mov_b32_e32 v6, v21
	v_lshl_add_u64 v[2:3], v[22:23], 1, s[28:29]
	v_cmp_gt_u32_e32 vcc, s22, v0
	v_mul_f32_e32 v1, s23, v4
	v_fma_mixlo_f16 v1, s33, v1, 0
	global_store_short v[2:3], v1, off
	s_and_b64 exec, exec, vcc
	s_cbranch_execz .LBB45_6
; %bb.51:                               ;   in Loop: Header=BB45_7 Depth=1
	scratch_load_dwordx4 v[2:5], off, off offset:1024
	v_add_u32_e32 v22, s39, v0
	v_add_u32_e32 v0, 3, v20
	s_waitcnt vmcnt(0)
	v_lshl_add_u64 v[4:5], v[22:23], 1, s[28:29]
	v_mov_b32_e32 v21, v6
	v_cmp_gt_u32_e32 vcc, s22, v0
	v_mul_f32_e32 v1, s23, v2
	v_fma_mixlo_f16 v1, s33, v1, 0
	global_store_short v[4:5], v1, off
	s_and_b64 exec, exec, vcc
	s_cbranch_execz .LBB45_6
; %bb.52:                               ;   in Loop: Header=BB45_7 Depth=1
	scratch_load_dwordx4 v[2:5], off, off offset:1088
	v_add_u32_e32 v22, s39, v0
	v_add_u32_e32 v0, 4, v20
	s_waitcnt vmcnt(0)
	v_lshl_add_u64 v[4:5], v[22:23], 1, s[28:29]
	v_mov_b32_e32 v21, v6
	;; [unrolled: 13-line block ×4, first 2 shown]
	v_cmp_gt_u32_e32 vcc, s22, v0
	v_mul_f32_e32 v1, s23, v2
	v_fma_mixlo_f16 v1, s33, v1, 0
	global_store_short v[4:5], v1, off
	s_and_b64 exec, exec, vcc
	s_cbranch_execz .LBB45_6
; %bb.55:                               ;   in Loop: Header=BB45_7 Depth=1
	scratch_load_dwordx4 v[2:5], off, off offset:1280
	v_add_u32_e32 v22, s39, v0
	v_mov_b32_e32 v21, v6
	s_waitcnt vmcnt(0)
	v_mul_f32_e32 v0, s23, v2
	v_fma_mixlo_f16 v2, s33, v0, 0
	v_lshl_add_u64 v[0:1], v[22:23], 1, s[28:29]
	global_store_short v[0:1], v2, off
	s_branch .LBB45_6
.LBB45_56:
	s_endpgm
	.section	.rodata,"a",@progbits
	.p2align	6, 0x0
	.amdhsa_kernel _Z13wvSplitKQ_hf_I6__halfN3c1015Float8_e4m3fnuzELi64ELi7ELi16ELi16ELi1ELi3EEviiiPKT0_S5_PT_PKfS9_ii
		.amdhsa_group_segment_fixed_size 65536
		.amdhsa_private_segment_fixed_size 2944
		.amdhsa_kernarg_size 64
		.amdhsa_user_sgpr_count 2
		.amdhsa_user_sgpr_dispatch_ptr 0
		.amdhsa_user_sgpr_queue_ptr 0
		.amdhsa_user_sgpr_kernarg_segment_ptr 1
		.amdhsa_user_sgpr_dispatch_id 0
		.amdhsa_user_sgpr_kernarg_preload_length 0
		.amdhsa_user_sgpr_kernarg_preload_offset 0
		.amdhsa_user_sgpr_private_segment_size 0
		.amdhsa_uses_dynamic_stack 0
		.amdhsa_enable_private_segment 1
		.amdhsa_system_sgpr_workgroup_id_x 1
		.amdhsa_system_sgpr_workgroup_id_y 0
		.amdhsa_system_sgpr_workgroup_id_z 0
		.amdhsa_system_sgpr_workgroup_info 0
		.amdhsa_system_vgpr_workitem_id 1
		.amdhsa_next_free_vgpr 128
		.amdhsa_next_free_sgpr 42
		.amdhsa_accum_offset 128
		.amdhsa_reserve_vcc 1
		.amdhsa_float_round_mode_32 0
		.amdhsa_float_round_mode_16_64 0
		.amdhsa_float_denorm_mode_32 3
		.amdhsa_float_denorm_mode_16_64 3
		.amdhsa_dx10_clamp 1
		.amdhsa_ieee_mode 1
		.amdhsa_fp16_overflow 0
		.amdhsa_tg_split 0
		.amdhsa_exception_fp_ieee_invalid_op 0
		.amdhsa_exception_fp_denorm_src 0
		.amdhsa_exception_fp_ieee_div_zero 0
		.amdhsa_exception_fp_ieee_overflow 0
		.amdhsa_exception_fp_ieee_underflow 0
		.amdhsa_exception_fp_ieee_inexact 0
		.amdhsa_exception_int_div_zero 0
	.end_amdhsa_kernel
	.section	.text._Z13wvSplitKQ_hf_I6__halfN3c1015Float8_e4m3fnuzELi64ELi7ELi16ELi16ELi1ELi3EEviiiPKT0_S5_PT_PKfS9_ii,"axG",@progbits,_Z13wvSplitKQ_hf_I6__halfN3c1015Float8_e4m3fnuzELi64ELi7ELi16ELi16ELi1ELi3EEviiiPKT0_S5_PT_PKfS9_ii,comdat
.Lfunc_end45:
	.size	_Z13wvSplitKQ_hf_I6__halfN3c1015Float8_e4m3fnuzELi64ELi7ELi16ELi16ELi1ELi3EEviiiPKT0_S5_PT_PKfS9_ii, .Lfunc_end45-_Z13wvSplitKQ_hf_I6__halfN3c1015Float8_e4m3fnuzELi64ELi7ELi16ELi16ELi1ELi3EEviiiPKT0_S5_PT_PKfS9_ii
                                        ; -- End function
	.section	.AMDGPU.csdata,"",@progbits
; Kernel info:
; codeLenInByte = 8140
; NumSgprs: 48
; NumVgprs: 128
; NumAgprs: 0
; TotalNumVgprs: 128
; ScratchSize: 2944
; MemoryBound: 1
; FloatMode: 240
; IeeeMode: 1
; LDSByteSize: 65536 bytes/workgroup (compile time only)
; SGPRBlocks: 5
; VGPRBlocks: 15
; NumSGPRsForWavesPerEU: 48
; NumVGPRsForWavesPerEU: 128
; AccumOffset: 128
; Occupancy: 4
; WaveLimiterHint : 1
; COMPUTE_PGM_RSRC2:SCRATCH_EN: 1
; COMPUTE_PGM_RSRC2:USER_SGPR: 2
; COMPUTE_PGM_RSRC2:TRAP_HANDLER: 0
; COMPUTE_PGM_RSRC2:TGID_X_EN: 1
; COMPUTE_PGM_RSRC2:TGID_Y_EN: 0
; COMPUTE_PGM_RSRC2:TGID_Z_EN: 0
; COMPUTE_PGM_RSRC2:TIDIG_COMP_CNT: 1
; COMPUTE_PGM_RSRC3_GFX90A:ACCUM_OFFSET: 31
; COMPUTE_PGM_RSRC3_GFX90A:TG_SPLIT: 0
	.section	.text._Z17wvSplitKQ_hf_sml_I6__halfN3c1015Float8_e4m3fnuzELi64ELi4ELi16ELi16ELi1ELi4EEviiiPKT0_S5_PT_PKfS9_ii,"axG",@progbits,_Z17wvSplitKQ_hf_sml_I6__halfN3c1015Float8_e4m3fnuzELi64ELi4ELi16ELi16ELi1ELi4EEviiiPKT0_S5_PT_PKfS9_ii,comdat
	.protected	_Z17wvSplitKQ_hf_sml_I6__halfN3c1015Float8_e4m3fnuzELi64ELi4ELi16ELi16ELi1ELi4EEviiiPKT0_S5_PT_PKfS9_ii ; -- Begin function _Z17wvSplitKQ_hf_sml_I6__halfN3c1015Float8_e4m3fnuzELi64ELi4ELi16ELi16ELi1ELi4EEviiiPKT0_S5_PT_PKfS9_ii
	.globl	_Z17wvSplitKQ_hf_sml_I6__halfN3c1015Float8_e4m3fnuzELi64ELi4ELi16ELi16ELi1ELi4EEviiiPKT0_S5_PT_PKfS9_ii
	.p2align	8
	.type	_Z17wvSplitKQ_hf_sml_I6__halfN3c1015Float8_e4m3fnuzELi64ELi4ELi16ELi16ELi1ELi4EEviiiPKT0_S5_PT_PKfS9_ii,@function
_Z17wvSplitKQ_hf_sml_I6__halfN3c1015Float8_e4m3fnuzELi64ELi4ELi16ELi16ELi1ELi4EEviiiPKT0_S5_PT_PKfS9_ii: ; @_Z17wvSplitKQ_hf_sml_I6__halfN3c1015Float8_e4m3fnuzELi64ELi4ELi16ELi16ELi1ELi4EEviiiPKT0_S5_PT_PKfS9_ii
; %bb.0:
	s_load_dwordx4 s[4:7], s[0:1], 0x0
	s_load_dwordx4 s[8:11], s[0:1], 0x28
	v_bfe_u32 v1, v0, 10, 10
	v_and_b32_e32 v0, 0x3ff, v0
	v_lshlrev_b32_e32 v106, 4, v0
	s_waitcnt lgkmcnt(0)
	s_lshl_b32 s3, s4, 2
	v_lshl_add_u32 v2, v1, 10, v106
	s_min_i32 s3, s3, 0x10000
	v_cmp_gt_u32_e32 vcc, s3, v2
	s_and_saveexec_b64 s[12:13], vcc
	s_cbranch_execz .LBB46_3
; %bb.1:
	s_load_dwordx2 s[14:15], s[0:1], 0x18
	s_mov_b64 s[16:17], 0
.LBB46_2:                               ; =>This Inner Loop Header: Depth=1
	s_waitcnt lgkmcnt(0)
	global_load_dwordx4 v[4:7], v2, s[14:15]
	s_waitcnt vmcnt(0)
	ds_write_b128 v2, v[4:7]
	v_add_u32_e32 v2, 0x4000, v2
	v_cmp_le_u32_e32 vcc, s3, v2
	s_or_b64 s[16:17], vcc, s[16:17]
	s_andn2_b64 exec, exec, s[16:17]
	s_cbranch_execnz .LBB46_2
.LBB46_3:
	s_or_b64 exec, exec, s[12:13]
	s_load_dwordx2 s[14:15], s[0:1], 0x38
	s_waitcnt lgkmcnt(0)
	s_barrier
	v_cmp_gt_u32_e32 vcc, s14, v1
	s_and_saveexec_b64 s[12:13], vcc
	s_cbranch_execz .LBB46_17
; %bb.4:
	s_mul_i32 s2, s2, s14
	v_add_u32_e32 v1, s2, v1
	v_lshlrev_b32_e32 v118, 2, v1
	v_cmp_gt_u32_e32 vcc, s6, v118
	s_and_b64 exec, exec, vcc
	s_cbranch_execz .LBB46_17
; %bb.5:
	s_load_dword s7, s[8:9], 0x0
	s_load_dword s22, s[10:11], 0x0
	s_load_dwordx2 s[2:3], s[0:1], 0x10
	s_load_dwordx2 s[12:13], s[0:1], 0x20
	s_mov_b32 s9, 0
	v_cmp_eq_u32_e64 s[0:1], 0, v0
	v_mul_lo_u32 v0, s5, v1
	s_mov_b32 s24, s9
	s_mov_b32 s25, s9
	v_mad_u64_u32 v[108:109], s[18:19], s4, 3, v[106:107]
	v_lshl_add_u32 v107, v0, 2, v106
	s_mov_b32 s26, s9
	s_mov_b32 s27, s9
	v_mov_b64_e32 v[0:1], s[24:25]
	v_mov_b64_e32 v[2:3], s[26:27]
	scratch_store_dwordx4 off, v[0:3], off offset:1928 ; 16-byte Folded Spill
	s_mul_i32 s20, s14, s15
	s_cmp_lg_u32 s4, 0
	v_mbcnt_lo_u32_b32 v0, -1, 0
	v_mbcnt_hi_u32_b32 v0, -1, v0
	s_cselect_b64 s[10:11], -1, 0
	s_lshl_b32 s23, s20, 2
	s_mul_i32 s20, s20, s5
	v_lshlrev_b32_e32 v0, 2, v0
	s_mov_b32 s8, s5
	s_lshl_b32 s14, s5, 1
	s_mov_b32 s15, s9
	s_mul_i32 s16, s5, 3
	s_mov_b32 s17, s9
	v_lshl_add_u32 v109, s4, 1, v106
	v_add_u32_e32 v110, s4, v106
	s_lshl_b32 s5, s20, 2
	s_mov_b64 s[18:19], 0
	v_mov_b32_e32 v105, 0
	v_and_b32_e32 v122, 0x100, v0
	scratch_store_dword off, v122, off offset:1944 ; 4-byte Folded Spill
	s_branch .LBB46_7
.LBB46_6:                               ;   in Loop: Header=BB46_7 Depth=1
	s_or_b64 exec, exec, s[20:21]
	v_add_u32_e32 v118, s23, v118
	v_cmp_le_u32_e32 vcc, s6, v118
	v_mov_b32_e32 v107, v121
	s_or_b64 s[18:19], vcc, s[18:19]
	v_add_u32_e32 v107, s5, v107
	v_mov_b32_e32 v106, v116
	v_mov_b32_e32 v108, v120
	;; [unrolled: 1-line block ×4, first 2 shown]
	s_andn2_b64 exec, exec, s[18:19]
	s_cbranch_execz .LBB46_17
.LBB46_7:                               ; =>This Loop Header: Depth=1
                                        ;     Child Loop BB46_10 Depth 2
                                        ;     Child Loop BB46_14 Depth 2
	scratch_load_dwordx4 v[0:3], off, off offset:1928 ; 16-byte Folded Reload
	s_and_b64 vcc, exec, s[10:11]
	s_waitcnt vmcnt(0)
	scratch_store_dwordx4 off, v[0:3], off offset:48
	scratch_store_dwordx4 off, v[0:3], off offset:32
	;; [unrolled: 1-line block ×3, first 2 shown]
	scratch_store_dwordx4 off, v[0:3], off
	scratch_store_dwordx4 off, v[0:3], off offset:304
	scratch_store_dwordx4 off, v[0:3], off offset:288
	scratch_store_dwordx4 off, v[0:3], off offset:272
	scratch_store_dwordx4 off, v[0:3], off offset:256
	scratch_store_dwordx4 off, v[0:3], off offset:560
	scratch_store_dwordx4 off, v[0:3], off offset:544
	scratch_store_dwordx4 off, v[0:3], off offset:528
	scratch_store_dwordx4 off, v[0:3], off offset:512
	scratch_store_dwordx4 off, v[0:3], off offset:816
	scratch_store_dwordx4 off, v[0:3], off offset:800
	scratch_store_dwordx4 off, v[0:3], off offset:784
	scratch_store_dwordx4 off, v[0:3], off offset:768
	scratch_store_dwordx4 off, v[0:3], off offset:112
	scratch_store_dwordx4 off, v[0:3], off offset:96
	scratch_store_dwordx4 off, v[0:3], off offset:80
	scratch_store_dwordx4 off, v[0:3], off offset:64
	scratch_store_dwordx4 off, v[0:3], off offset:368
	scratch_store_dwordx4 off, v[0:3], off offset:352
	scratch_store_dwordx4 off, v[0:3], off offset:336
	scratch_store_dwordx4 off, v[0:3], off offset:320
	scratch_store_dwordx4 off, v[0:3], off offset:624
	scratch_store_dwordx4 off, v[0:3], off offset:608
	scratch_store_dwordx4 off, v[0:3], off offset:592
	scratch_store_dwordx4 off, v[0:3], off offset:576
	scratch_store_dwordx4 off, v[0:3], off offset:880
	scratch_store_dwordx4 off, v[0:3], off offset:864
	scratch_store_dwordx4 off, v[0:3], off offset:848
	scratch_store_dwordx4 off, v[0:3], off offset:832
	scratch_store_dwordx4 off, v[0:3], off offset:176
	scratch_store_dwordx4 off, v[0:3], off offset:160
	scratch_store_dwordx4 off, v[0:3], off offset:144
	scratch_store_dwordx4 off, v[0:3], off offset:128
	scratch_store_dwordx4 off, v[0:3], off offset:432
	scratch_store_dwordx4 off, v[0:3], off offset:416
	scratch_store_dwordx4 off, v[0:3], off offset:400
	scratch_store_dwordx4 off, v[0:3], off offset:384
	scratch_store_dwordx4 off, v[0:3], off offset:688
	scratch_store_dwordx4 off, v[0:3], off offset:672
	scratch_store_dwordx4 off, v[0:3], off offset:656
	scratch_store_dwordx4 off, v[0:3], off offset:640
	scratch_store_dwordx4 off, v[0:3], off offset:944
	scratch_store_dwordx4 off, v[0:3], off offset:928
	scratch_store_dwordx4 off, v[0:3], off offset:912
	scratch_store_dwordx4 off, v[0:3], off offset:896
	scratch_store_dwordx4 off, v[0:3], off offset:240
	scratch_store_dwordx4 off, v[0:3], off offset:224
	scratch_store_dwordx4 off, v[0:3], off offset:208
	scratch_store_dwordx4 off, v[0:3], off offset:192
	scratch_store_dwordx4 off, v[0:3], off offset:496
	scratch_store_dwordx4 off, v[0:3], off offset:480
	scratch_store_dwordx4 off, v[0:3], off offset:464
	scratch_store_dwordx4 off, v[0:3], off offset:448
	scratch_store_dwordx4 off, v[0:3], off offset:752
	scratch_store_dwordx4 off, v[0:3], off offset:736
	scratch_store_dwordx4 off, v[0:3], off offset:720
	scratch_store_dwordx4 off, v[0:3], off offset:704
	scratch_store_dwordx4 off, v[0:3], off offset:1008
	scratch_store_dwordx4 off, v[0:3], off offset:992
	scratch_store_dwordx4 off, v[0:3], off offset:976
	scratch_store_dwordx4 off, v[0:3], off offset:960
	s_cbranch_vccz .LBB46_13
; %bb.8:                                ;   in Loop: Header=BB46_7 Depth=1
	v_mov_b32_e32 v112, 0
	v_mov_b32_e32 v0, v112
	;; [unrolled: 1-line block ×33, first 2 shown]
	scratch_store_dwordx2 off, v[118:119], off offset:1920 ; 8-byte Folded Spill
	scratch_store_dwordx4 off, v[0:3], off offset:1472 ; 16-byte Folded Spill
	s_nop 0
	scratch_store_dwordx4 off, v[4:7], off offset:1488 ; 16-byte Folded Spill
	scratch_store_dwordx4 off, v[8:11], off offset:1504 ; 16-byte Folded Spill
	scratch_store_dwordx4 off, v[12:15], off offset:1520 ; 16-byte Folded Spill
	scratch_store_dwordx4 off, v[0:3], off offset:1600 ; 16-byte Folded Spill
	s_nop 0
	scratch_store_dwordx4 off, v[4:7], off offset:1616 ; 16-byte Folded Spill
	scratch_store_dwordx4 off, v[8:11], off offset:1632 ; 16-byte Folded Spill
	scratch_store_dwordx4 off, v[12:15], off offset:1648 ; 16-byte Folded Spill
	;; [unrolled: 5-line block ×6, first 2 shown]
	s_mov_b32 s24, 0
	v_mov_b32_e32 v113, v112
	v_mov_b32_e32 v114, v112
	;; [unrolled: 1-line block ×49, first 2 shown]
	scratch_store_dwordx4 off, v[60:63], off offset:1216 ; 16-byte Folded Spill
	s_nop 0
	scratch_store_dwordx4 off, v[64:67], off offset:1232 ; 16-byte Folded Spill
	scratch_store_dwordx4 off, v[68:71], off offset:1248 ; 16-byte Folded Spill
	scratch_store_dwordx4 off, v[72:75], off offset:1264 ; 16-byte Folded Spill
	scratch_store_dwordx4 off, v[40:43], off offset:1280 ; 16-byte Folded Spill
	s_nop 0
	scratch_store_dwordx4 off, v[44:47], off offset:1296 ; 16-byte Folded Spill
	scratch_store_dwordx4 off, v[48:51], off offset:1312 ; 16-byte Folded Spill
	scratch_store_dwordx4 off, v[52:55], off offset:1328 ; 16-byte Folded Spill
	;; [unrolled: 5-line block ×7, first 2 shown]
	s_branch .LBB46_10
.LBB46_9:                               ;   in Loop: Header=BB46_10 Depth=2
	s_or_b64 exec, exec, s[20:21]
	scratch_load_dwordx4 v[80:83], off, off offset:1728 ; 16-byte Folded Reload
	scratch_load_dwordx4 v[84:87], off, off offset:1744 ; 16-byte Folded Reload
	;; [unrolled: 1-line block ×12, first 2 shown]
	s_waitcnt vmcnt(15) lgkmcnt(0)
	v_mfma_f32_32x32x16_fp8_fp8 v[0:15], v[44:45], v[32:33], v[0:15]
	s_addk_i32 s24, 0x400
	s_cmp_ge_u32 s24, s4
	v_mfma_f32_32x32x16_fp8_fp8 v[0:15], v[46:47], v[34:35], v[0:15]
	v_mfma_f32_32x32x16_fp8_fp8 v[112:127], v[40:41], v[32:33], v[112:127]
	v_mfma_f32_32x32x16_fp8_fp8 v[112:127], v[42:43], v[34:35], v[112:127]
	s_waitcnt vmcnt(8)
	v_mfma_f32_32x32x16_fp8_fp8 v[80:95], v[44:45], v[28:29], v[80:95]
	s_waitcnt vmcnt(4)
	v_mfma_f32_32x32x16_fp8_fp8 v[64:79], v[44:45], v[24:25], v[64:79]
	;; [unrolled: 2-line block ×3, first 2 shown]
	v_mfma_f32_32x32x16_fp8_fp8 v[80:95], v[46:47], v[30:31], v[80:95]
	s_nop 7
	s_nop 2
	scratch_store_dwordx4 off, v[80:83], off offset:1728 ; 16-byte Folded Spill
	s_nop 0
	scratch_store_dwordx4 off, v[84:87], off offset:1744 ; 16-byte Folded Spill
	scratch_store_dwordx4 off, v[88:91], off offset:1760 ; 16-byte Folded Spill
	scratch_store_dwordx4 off, v[92:95], off offset:1776 ; 16-byte Folded Spill
	v_mfma_f32_32x32x16_fp8_fp8 v[64:79], v[46:47], v[26:27], v[64:79]
	s_nop 7
	s_nop 2
	scratch_store_dwordx4 off, v[64:67], off offset:1600 ; 16-byte Folded Spill
	s_nop 0
	scratch_store_dwordx4 off, v[68:71], off offset:1616 ; 16-byte Folded Spill
	scratch_store_dwordx4 off, v[72:75], off offset:1632 ; 16-byte Folded Spill
	scratch_store_dwordx4 off, v[76:79], off offset:1648 ; 16-byte Folded Spill
	;; [unrolled: 8-line block ×3, first 2 shown]
	scratch_load_dwordx4 v[76:79], off, off offset:1792 ; 16-byte Folded Reload
	scratch_load_dwordx4 v[80:83], off, off offset:1808 ; 16-byte Folded Reload
	scratch_load_dwordx4 v[84:87], off, off offset:1824 ; 16-byte Folded Reload
	scratch_load_dwordx4 v[88:91], off, off offset:1840 ; 16-byte Folded Reload
	s_nop 0
	scratch_load_dwordx4 v[60:63], off, off offset:1664 ; 16-byte Folded Reload
	scratch_load_dwordx4 v[64:67], off, off offset:1680 ; 16-byte Folded Reload
	;; [unrolled: 1-line block ×8, first 2 shown]
	s_waitcnt vmcnt(8)
	v_mfma_f32_32x32x16_fp8_fp8 v[76:91], v[40:41], v[28:29], v[76:91]
	s_waitcnt vmcnt(4)
	v_mfma_f32_32x32x16_fp8_fp8 v[60:75], v[40:41], v[24:25], v[60:75]
	;; [unrolled: 2-line block ×3, first 2 shown]
	v_mfma_f32_32x32x16_fp8_fp8 v[76:91], v[42:43], v[30:31], v[76:91]
	s_nop 7
	s_nop 2
	scratch_store_dwordx4 off, v[76:79], off offset:1792 ; 16-byte Folded Spill
	s_nop 0
	scratch_store_dwordx4 off, v[80:83], off offset:1808 ; 16-byte Folded Spill
	scratch_store_dwordx4 off, v[84:87], off offset:1824 ; 16-byte Folded Spill
	scratch_store_dwordx4 off, v[88:91], off offset:1840 ; 16-byte Folded Spill
	v_mfma_f32_32x32x16_fp8_fp8 v[60:75], v[42:43], v[26:27], v[60:75]
	s_nop 7
	s_nop 2
	scratch_store_dwordx4 off, v[60:63], off offset:1664 ; 16-byte Folded Spill
	s_nop 0
	scratch_store_dwordx4 off, v[64:67], off offset:1680 ; 16-byte Folded Spill
	scratch_store_dwordx4 off, v[68:71], off offset:1696 ; 16-byte Folded Spill
	scratch_store_dwordx4 off, v[72:75], off offset:1712 ; 16-byte Folded Spill
	;; [unrolled: 8-line block ×3, first 2 shown]
	scratch_load_dwordx4 v[88:91], off, off offset:1408 ; 16-byte Folded Reload
	scratch_load_dwordx4 v[92:95], off, off offset:1424 ; 16-byte Folded Reload
	;; [unrolled: 1-line block ×16, first 2 shown]
	s_waitcnt vmcnt(12)
	v_mfma_f32_32x32x16_fp8_fp8 v[88:103], v[36:37], v[32:33], v[88:103]
	s_waitcnt vmcnt(8)
	v_mfma_f32_32x32x16_fp8_fp8 v[72:87], v[36:37], v[28:29], v[72:87]
	s_waitcnt vmcnt(4)
	v_mfma_f32_32x32x16_fp8_fp8 v[56:71], v[36:37], v[24:25], v[56:71]
	s_waitcnt vmcnt(0)
	v_mfma_f32_32x32x16_fp8_fp8 v[40:55], v[36:37], v[20:21], v[40:55]
	v_mfma_f32_32x32x16_fp8_fp8 v[88:103], v[38:39], v[34:35], v[88:103]
	s_nop 7
	s_nop 2
	scratch_store_dwordx4 off, v[88:91], off offset:1408 ; 16-byte Folded Spill
	s_nop 0
	scratch_store_dwordx4 off, v[92:95], off offset:1424 ; 16-byte Folded Spill
	scratch_store_dwordx4 off, v[96:99], off offset:1440 ; 16-byte Folded Spill
	scratch_store_dwordx4 off, v[100:103], off offset:1456 ; 16-byte Folded Spill
	v_mfma_f32_32x32x16_fp8_fp8 v[72:87], v[38:39], v[30:31], v[72:87]
	s_nop 7
	s_nop 2
	scratch_store_dwordx4 off, v[72:75], off offset:1344 ; 16-byte Folded Spill
	s_nop 0
	scratch_store_dwordx4 off, v[76:79], off offset:1360 ; 16-byte Folded Spill
	scratch_store_dwordx4 off, v[80:83], off offset:1376 ; 16-byte Folded Spill
	scratch_store_dwordx4 off, v[84:87], off offset:1392 ; 16-byte Folded Spill
	;; [unrolled: 8-line block ×4, first 2 shown]
	scratch_load_dwordx4 v[36:39], off, off offset:1152 ; 16-byte Folded Reload
	s_nop 0
	scratch_load_dwordx4 v[40:43], off, off offset:1168 ; 16-byte Folded Reload
	scratch_load_dwordx4 v[44:47], off, off offset:1184 ; 16-byte Folded Reload
	scratch_load_dwordx4 v[48:51], off, off offset:1200 ; 16-byte Folded Reload
	s_waitcnt vmcnt(0)
	v_mfma_f32_32x32x16_fp8_fp8 v[36:51], v[16:17], v[32:33], v[36:51]
	v_mfma_f32_32x32x16_fp8_fp8 v[36:51], v[18:19], v[34:35], v[36:51]
	s_nop 7
	s_nop 2
	scratch_store_dwordx4 off, v[36:39], off offset:1152 ; 16-byte Folded Spill
	s_nop 0
	scratch_store_dwordx4 off, v[40:43], off offset:1168 ; 16-byte Folded Spill
	scratch_store_dwordx4 off, v[44:47], off offset:1184 ; 16-byte Folded Spill
	scratch_store_dwordx4 off, v[48:51], off offset:1200 ; 16-byte Folded Spill
	scratch_load_dwordx4 v[32:35], off, off offset:1088 ; 16-byte Folded Reload
	s_nop 0
	scratch_load_dwordx4 v[36:39], off, off offset:1104 ; 16-byte Folded Reload
	scratch_load_dwordx4 v[40:43], off, off offset:1120 ; 16-byte Folded Reload
	scratch_load_dwordx4 v[44:47], off, off offset:1136 ; 16-byte Folded Reload
	s_waitcnt vmcnt(0)
	v_mfma_f32_32x32x16_fp8_fp8 v[32:47], v[16:17], v[28:29], v[32:47]
	v_mfma_f32_32x32x16_fp8_fp8 v[32:47], v[18:19], v[30:31], v[32:47]
	s_nop 7
	s_nop 2
	scratch_store_dwordx4 off, v[32:35], off offset:1088 ; 16-byte Folded Spill
	s_nop 0
	scratch_store_dwordx4 off, v[36:39], off offset:1104 ; 16-byte Folded Spill
	scratch_store_dwordx4 off, v[40:43], off offset:1120 ; 16-byte Folded Spill
	scratch_store_dwordx4 off, v[44:47], off offset:1136 ; 16-byte Folded Spill
	scratch_load_dwordx4 v[28:31], off, off offset:1024 ; 16-byte Folded Reload
	s_nop 0
	scratch_load_dwordx4 v[32:35], off, off offset:1040 ; 16-byte Folded Reload
	scratch_load_dwordx4 v[36:39], off, off offset:1056 ; 16-byte Folded Reload
	scratch_load_dwordx4 v[40:43], off, off offset:1072 ; 16-byte Folded Reload
	s_waitcnt vmcnt(0)
	v_mfma_f32_32x32x16_fp8_fp8 v[28:43], v[16:17], v[24:25], v[28:43]
	v_mfma_f32_32x32x16_fp8_fp8 v[28:43], v[18:19], v[26:27], v[28:43]
	s_nop 7
	s_nop 2
	scratch_store_dwordx4 off, v[28:31], off offset:1024 ; 16-byte Folded Spill
	s_nop 0
	scratch_store_dwordx4 off, v[32:35], off offset:1040 ; 16-byte Folded Spill
	scratch_store_dwordx4 off, v[36:39], off offset:1056 ; 16-byte Folded Spill
	scratch_store_dwordx4 off, v[40:43], off offset:1072 ; 16-byte Folded Spill
	scratch_load_dwordx4 v[24:27], off, off offset:1856 ; 16-byte Folded Reload
	s_nop 0
	scratch_load_dwordx4 v[28:31], off, off offset:1872 ; 16-byte Folded Reload
	scratch_load_dwordx4 v[32:35], off, off offset:1888 ; 16-byte Folded Reload
	;; [unrolled: 1-line block ×3, first 2 shown]
	s_waitcnt vmcnt(0)
	v_mfma_f32_32x32x16_fp8_fp8 v[24:39], v[16:17], v[20:21], v[24:39]
	v_mfma_f32_32x32x16_fp8_fp8 v[24:39], v[18:19], v[22:23], v[24:39]
	s_cbranch_scc1 .LBB46_12
.LBB46_10:                              ;   Parent Loop BB46_7 Depth=1
                                        ; =>  This Inner Loop Header: Depth=2
	s_nop 7
	s_nop 1
	scratch_store_dwordx4 off, v[24:27], off offset:1856 ; 16-byte Folded Spill
	s_nop 0
	scratch_store_dwordx4 off, v[28:31], off offset:1872 ; 16-byte Folded Spill
	scratch_store_dwordx4 off, v[32:35], off offset:1888 ; 16-byte Folded Spill
	;; [unrolled: 1-line block ×3, first 2 shown]
	v_add_u32_e32 v48, s24, v106
	v_mov_b64_e32 v[16:17], 0
	v_cmp_gt_u32_e32 vcc, s4, v48
	v_mov_b64_e32 v[18:19], v[16:17]
	v_mov_b64_e32 v[36:37], v[16:17]
	;; [unrolled: 1-line block ×15, first 2 shown]
	s_and_saveexec_b64 s[20:21], vcc
	s_cbranch_execz .LBB46_9
; %bb.11:                               ;   in Loop: Header=BB46_10 Depth=2
	v_add_u32_e32 v104, s24, v107
	s_waitcnt lgkmcnt(0)
	v_lshl_add_u64 v[16:17], s[2:3], 0, v[104:105]
	v_lshl_add_u64 v[18:19], v[16:17], 0, s[8:9]
	;; [unrolled: 1-line block ×4, first 2 shown]
	global_load_dwordx4 v[32:35], v104, s[2:3] nt
	global_load_dwordx4 v[28:31], v[18:19], off nt
	global_load_dwordx4 v[24:27], v[20:21], off nt
	ds_read_b128 v[44:47], v48
	global_load_dwordx4 v[20:23], v[16:17], off nt
	v_add_u32_e32 v16, s24, v110
	v_add_u32_e32 v17, s24, v109
	ds_read_b128 v[40:43], v16
	ds_read_b128 v[36:39], v17
	v_add_u32_e32 v16, s24, v108
	ds_read_b128 v[16:19], v16
	s_branch .LBB46_9
.LBB46_12:                              ;   in Loop: Header=BB46_7 Depth=1
	scratch_store_dwordx4 off, v[12:15], off offset:48
	scratch_store_dwordx4 off, v[8:11], off offset:32
	;; [unrolled: 1-line block ×3, first 2 shown]
	scratch_store_dwordx4 off, v[0:3], off
	scratch_load_dwordx4 v[0:3], off, off offset:1728 ; 16-byte Folded Reload
	s_nop 0
	scratch_load_dwordx4 v[4:7], off, off offset:1744 ; 16-byte Folded Reload
	scratch_load_dwordx4 v[8:11], off, off offset:1760 ; 16-byte Folded Reload
	scratch_load_dwordx4 v[12:15], off, off offset:1776 ; 16-byte Folded Reload
	s_waitcnt vmcnt(0)
	scratch_store_dwordx4 off, v[12:15], off offset:112
	scratch_store_dwordx4 off, v[8:11], off offset:96
	scratch_store_dwordx4 off, v[4:7], off offset:80
	scratch_store_dwordx4 off, v[0:3], off offset:64
	scratch_load_dwordx4 v[0:3], off, off offset:1600 ; 16-byte Folded Reload
	s_nop 0
	scratch_load_dwordx4 v[4:7], off, off offset:1616 ; 16-byte Folded Reload
	scratch_load_dwordx4 v[8:11], off, off offset:1632 ; 16-byte Folded Reload
	scratch_load_dwordx4 v[12:15], off, off offset:1648 ; 16-byte Folded Reload
	s_waitcnt vmcnt(0)
	scratch_store_dwordx4 off, v[12:15], off offset:176
	scratch_store_dwordx4 off, v[8:11], off offset:160
	scratch_store_dwordx4 off, v[4:7], off offset:144
	scratch_store_dwordx4 off, v[0:3], off offset:128
	;; [unrolled: 10-line block ×3, first 2 shown]
	scratch_store_dwordx4 off, v[124:127], off offset:304
	scratch_store_dwordx4 off, v[120:123], off offset:288
	scratch_store_dwordx4 off, v[116:119], off offset:272
	scratch_store_dwordx4 off, v[112:115], off offset:256
	scratch_load_dwordx4 v[0:3], off, off offset:1792 ; 16-byte Folded Reload
	scratch_load_dwordx4 v[4:7], off, off offset:1808 ; 16-byte Folded Reload
	;; [unrolled: 1-line block ×4, first 2 shown]
	s_waitcnt vmcnt(0)
	scratch_store_dwordx4 off, v[12:15], off offset:368
	scratch_store_dwordx4 off, v[8:11], off offset:352
	scratch_store_dwordx4 off, v[4:7], off offset:336
	scratch_store_dwordx4 off, v[0:3], off offset:320
	scratch_load_dwordx4 v[0:3], off, off offset:1664 ; 16-byte Folded Reload
	s_nop 0
	scratch_load_dwordx4 v[4:7], off, off offset:1680 ; 16-byte Folded Reload
	scratch_load_dwordx4 v[8:11], off, off offset:1696 ; 16-byte Folded Reload
	scratch_load_dwordx4 v[12:15], off, off offset:1712 ; 16-byte Folded Reload
	s_waitcnt vmcnt(0)
	scratch_store_dwordx4 off, v[12:15], off offset:432
	scratch_store_dwordx4 off, v[8:11], off offset:416
	scratch_store_dwordx4 off, v[4:7], off offset:400
	scratch_store_dwordx4 off, v[0:3], off offset:384
	scratch_load_dwordx4 v[0:3], off, off offset:1536 ; 16-byte Folded Reload
	s_nop 0
	scratch_load_dwordx4 v[4:7], off, off offset:1552 ; 16-byte Folded Reload
	scratch_load_dwordx4 v[8:11], off, off offset:1568 ; 16-byte Folded Reload
	scratch_load_dwordx4 v[12:15], off, off offset:1584 ; 16-byte Folded Reload
	;; [unrolled: 10-line block ×9, first 2 shown]
	s_waitcnt vmcnt(0)
	scratch_store_dwordx4 off, v[12:15], off offset:944
	scratch_store_dwordx4 off, v[8:11], off offset:928
	;; [unrolled: 1-line block ×8, first 2 shown]
	scratch_load_dwordx2 v[118:119], off, off offset:1920 ; 8-byte Folded Reload
	scratch_load_dword v122, off, off offset:1944 ; 4-byte Folded Reload
.LBB46_13:                              ;   in Loop: Header=BB46_7 Depth=1
	s_waitcnt vmcnt(1)
	v_mov_b32_e32 v119, v105
	v_mov_b32_e32 v121, v107
	;; [unrolled: 1-line block ×6, first 2 shown]
	s_mov_b32 s20, 0
.LBB46_14:                              ;   Parent Loop BB46_7 Depth=1
                                        ; =>  This Inner Loop Header: Depth=2
	s_add_i32 s21, s20, 0
	scratch_load_dwordx4 v[0:3], off, s21 offset:48
	scratch_load_dwordx4 v[4:7], off, s21 offset:32
	scratch_load_dwordx4 v[8:11], off, s21
	scratch_load_dwordx4 v[12:15], off, s21 offset:16
	s_add_i32 s20, s20, 64
	s_cmpk_lg_i32 s20, 0x100
	s_waitcnt vmcnt(2)
	;;#ASMSTART
	v_add_f32 v4, v5, v4 row_shl:1 bound_ctrl:0 
	;;#ASMEND
	s_nop 0
	;;#ASMSTART
	v_add_f32 v4, v6, v4 row_shl:2 bound_ctrl:0 
	;;#ASMEND
	s_waitcnt vmcnt(1)
	;;#ASMSTART
	v_add_f32 v8, v9, v8 row_shl:1 bound_ctrl:0 
	;;#ASMEND
	;;#ASMSTART
	v_add_f32 v4, v7, v4 row_shl:3 bound_ctrl:0 
	;;#ASMEND
	s_nop 0
	;;#ASMSTART
	v_add_f32 v8, v10, v8 row_shl:2 bound_ctrl:0 
	;;#ASMEND
	;;#ASMSTART
	v_add_f32 v4, v0, v4 row_shl:8 bound_ctrl:0 
	;;#ASMEND
	s_nop 0
	;;#ASMSTART
	v_add_f32 v8, v11, v8 row_shl:3 bound_ctrl:0 
	;;#ASMEND
	;;#ASMSTART
	v_add_f32 v4, v1, v4 row_shl:9 bound_ctrl:0 
	;;#ASMEND
	s_waitcnt vmcnt(0)
	;;#ASMSTART
	v_add_f32 v8, v12, v8 row_shl:8 bound_ctrl:0 
	;;#ASMEND
	;;#ASMSTART
	v_add_f32 v4, v2, v4 row_shl:10 bound_ctrl:0 
	;;#ASMEND
	s_nop 0
	;;#ASMSTART
	v_add_f32 v8, v13, v8 row_shl:9 bound_ctrl:0 
	;;#ASMEND
	;;#ASMSTART
	v_add_f32 v4, v3, v4 row_shl:11 bound_ctrl:0 
	;;#ASMEND
	ds_bpermute_b32 v0, v122, v4 offset:208
	;;#ASMSTART
	v_add_f32 v8, v14, v8 row_shl:10 bound_ctrl:0 
	;;#ASMEND
	s_waitcnt lgkmcnt(0)
	v_add_f32_e32 v0, v4, v0
	;;#ASMSTART
	v_add_f32 v8, v15, v8 row_shl:11 bound_ctrl:0 
	;;#ASMEND
	ds_bpermute_b32 v1, v122, v8 offset:144
	ds_bpermute_b32 v0, v122, v0 offset:64
	s_waitcnt lgkmcnt(1)
	v_add_f32_e32 v1, v8, v1
	s_waitcnt lgkmcnt(0)
	v_add_f32_e32 v0, v1, v0
	scratch_store_dword off, v0, s21
	s_cbranch_scc1 .LBB46_14
; %bb.15:                               ;   in Loop: Header=BB46_7 Depth=1
	scratch_load_dwordx4 v[8:11], off, off offset:256
	scratch_load_dwordx4 v[4:7], off, off offset:288
	;; [unrolled: 1-line block ×16, first 2 shown]
	v_or_b32_e32 v114, 0xd0, v122
	scratch_load_dwordx4 v[64:67], off, off offset:560
	scratch_load_dwordx4 v[68:71], off, off offset:544
	;; [unrolled: 1-line block ×12, first 2 shown]
	v_or_b32_e32 v112, 0x90, v122
	v_or_b32_e32 v113, 64, v122
	s_waitcnt vmcnt(27)
	;;#ASMSTART
	v_add_f32 v8, v9, v8 row_shl:1 bound_ctrl:0 
	;;#ASMEND
	s_waitcnt vmcnt(26)
	;;#ASMSTART
	v_add_f32 v4, v5, v4 row_shl:1 bound_ctrl:0 
	;;#ASMEND
	s_waitcnt vmcnt(25)
	;;#ASMSTART
	v_add_f32 v32, v33, v32 row_shl:1 bound_ctrl:0 
	;;#ASMEND
	s_waitcnt vmcnt(24)
	;;#ASMSTART
	v_add_f32 v36, v37, v36 row_shl:1 bound_ctrl:0 
	;;#ASMEND
	;;#ASMSTART
	v_add_f32 v8, v10, v8 row_shl:2 bound_ctrl:0 
	;;#ASMEND
	s_waitcnt vmcnt(22)
	;;#ASMSTART
	v_add_f32 v56, v57, v56 row_shl:1 bound_ctrl:0 
	;;#ASMEND
	;;#ASMSTART
	v_add_f32 v16, v17, v16 row_shl:1 bound_ctrl:0 
	;;#ASMEND
	;; [unrolled: 3-line block ×6, first 2 shown]
	s_waitcnt vmcnt(20)
	;;#ASMSTART
	v_add_f32 v76, v77, v76 row_shl:1 bound_ctrl:0 
	;;#ASMEND
	;;#ASMSTART
	v_add_f32 v56, v58, v56 row_shl:2 bound_ctrl:0 
	;;#ASMEND
	;; [unrolled: 3-line block ×5, first 2 shown]
	s_waitcnt vmcnt(19)
	;;#ASMSTART
	v_add_f32 v8, v92, v8 row_shl:8 bound_ctrl:0 
	;;#ASMEND
	;;#ASMSTART
	v_add_f32 v76, v78, v76 row_shl:2 bound_ctrl:0 
	;;#ASMEND
	;; [unrolled: 3-line block ×3, first 2 shown]
	s_waitcnt vmcnt(18)
	;;#ASMSTART
	v_add_f32 v4, v88, v4 row_shl:8 bound_ctrl:0 
	;;#ASMEND
	s_waitcnt vmcnt(17)
	;;#ASMSTART
	v_add_f32 v32, v100, v32 row_shl:8 bound_ctrl:0 
	;;#ASMEND
	;; [unrolled: 4-line block ×3, first 2 shown]
	;;#ASMSTART
	v_add_f32 v8, v93, v8 row_shl:9 bound_ctrl:0 
	;;#ASMEND
	;;#ASMSTART
	v_add_f32 v76, v79, v76 row_shl:3 bound_ctrl:0 
	;;#ASMEND
	s_waitcnt vmcnt(14)
	;;#ASMSTART
	v_add_f32 v56, v104, v56 row_shl:8 bound_ctrl:0 
	;;#ASMEND
	;;#ASMSTART
	v_add_f32 v4, v89, v4 row_shl:9 bound_ctrl:0 
	;;#ASMEND
	;; [unrolled: 3-line block ×5, first 2 shown]
	s_waitcnt vmcnt(12)
	;;#ASMSTART
	v_add_f32 v76, v84, v76 row_shl:8 bound_ctrl:0 
	;;#ASMEND
	;;#ASMSTART
	v_add_f32 v56, v105, v56 row_shl:9 bound_ctrl:0 
	;;#ASMEND
	;; [unrolled: 3-line block ×6, first 2 shown]
	ds_bpermute_b32 v5, v112, v8
	;;#ASMSTART
	v_add_f32 v4, v91, v4 row_shl:11 bound_ctrl:0 
	;;#ASMEND
	ds_bpermute_b32 v6, v114, v4
	;;#ASMSTART
	v_add_f32 v36, v99, v36 row_shl:11 bound_ctrl:0 
	;;#ASMEND
	;; [unrolled: 4-line block ×3, first 2 shown]
	ds_bpermute_b32 v7, v112, v32
	s_waitcnt lgkmcnt(2)
	v_add_f32_e32 v4, v4, v6
	ds_bpermute_b32 v4, v113, v4
	s_waitcnt lgkmcnt(2)
	v_add_f32_e32 v6, v36, v9
	ds_bpermute_b32 v6, v113, v6
	;;#ASMSTART
	v_add_f32 v76, v85, v76 row_shl:9 bound_ctrl:0 
	;;#ASMEND
	v_add_f32_e32 v5, v8, v5
	;;#ASMSTART
	v_add_f32 v56, v106, v56 row_shl:10 bound_ctrl:0 
	;;#ASMEND
	s_waitcnt lgkmcnt(2)
	v_add_f32_e32 v7, v32, v7
	s_waitcnt lgkmcnt(1)
	v_add_f32_e32 v4, v5, v4
	;;#ASMSTART
	v_add_f32 v76, v86, v76 row_shl:10 bound_ctrl:0 
	;;#ASMEND
	;;#ASMSTART
	v_add_f32 v56, v107, v56 row_shl:11 bound_ctrl:0 
	;;#ASMEND
	ds_bpermute_b32 v10, v114, v56
	s_waitcnt lgkmcnt(1)
	v_add_f32_e32 v5, v7, v6
	scratch_store_dword off, v4, off offset:256
	scratch_store_dword off, v5, off offset:320
	;;#ASMSTART
	v_add_f32 v76, v87, v76 row_shl:11 bound_ctrl:0 
	;;#ASMEND
	ds_bpermute_b32 v4, v114, v76
	s_waitcnt lgkmcnt(1)
	v_add_f32_e32 v8, v56, v10
	;;#ASMSTART
	v_add_f32 v52, v53, v52 row_shl:1 bound_ctrl:0 
	;;#ASMEND
	;;#ASMSTART
	v_add_f32 v16, v18, v16 row_shl:2 bound_ctrl:0 
	;;#ASMEND
	ds_bpermute_b32 v18, v113, v8
	s_waitcnt lgkmcnt(1)
	v_add_f32_e32 v4, v76, v4
	ds_bpermute_b32 v53, v113, v4
	scratch_load_dwordx4 v[4:7], off, off offset:720
	scratch_load_dwordx4 v[8:11], off, off offset:704
	;; [unrolled: 1-line block ×4, first 2 shown]
	;;#ASMSTART
	v_add_f32 v16, v19, v16 row_shl:3 bound_ctrl:0 
	;;#ASMEND
	;;#ASMSTART
	v_add_f32 v52, v54, v52 row_shl:2 bound_ctrl:0 
	;;#ASMEND
	s_waitcnt vmcnt(16)
	;;#ASMSTART
	v_add_f32 v68, v69, v68 row_shl:1 bound_ctrl:0 
	;;#ASMEND
	s_waitcnt vmcnt(12)
	;;#ASMSTART
	v_add_f32 v44, v45, v44 row_shl:1 bound_ctrl:0 
	;;#ASMEND
	;;#ASMSTART
	v_add_f32 v12, v13, v12 row_shl:1 bound_ctrl:0 
	;;#ASMEND
	s_waitcnt vmcnt(10)
	;;#ASMSTART
	v_add_f32 v40, v41, v40 row_shl:1 bound_ctrl:0 
	;;#ASMEND
	;;#ASMSTART
	v_add_f32 v16, v108, v16 row_shl:8 bound_ctrl:0 
	;;#ASMEND
	;;#ASMSTART
	v_add_f32 v52, v55, v52 row_shl:3 bound_ctrl:0 
	;;#ASMEND
	;;#ASMSTART
	v_add_f32 v68, v70, v68 row_shl:2 bound_ctrl:0 
	;;#ASMEND
	;;#ASMSTART
	v_add_f32 v44, v46, v44 row_shl:2 bound_ctrl:0 
	;;#ASMEND
	;;#ASMSTART
	v_add_f32 v12, v14, v12 row_shl:2 bound_ctrl:0 
	;;#ASMEND
	s_nop 0
	;;#ASMSTART
	v_add_f32 v40, v42, v40 row_shl:2 bound_ctrl:0 
	;;#ASMEND
	;;#ASMSTART
	v_add_f32 v16, v109, v16 row_shl:9 bound_ctrl:0 
	;;#ASMEND
	;;#ASMSTART
	v_add_f32 v52, v80, v52 row_shl:8 bound_ctrl:0 
	;;#ASMEND
	;;#ASMSTART
	v_add_f32 v68, v71, v68 row_shl:3 bound_ctrl:0 
	;;#ASMEND
	;;#ASMSTART
	v_add_f32 v44, v47, v44 row_shl:3 bound_ctrl:0 
	;;#ASMEND
	;;#ASMSTART
	v_add_f32 v12, v15, v12 row_shl:3 bound_ctrl:0 
	;;#ASMEND
	s_nop 0
	;; [unrolled: 19-line block ×3, first 2 shown]
	;;#ASMSTART
	v_add_f32 v40, v48, v40 row_shl:8 bound_ctrl:0 
	;;#ASMEND
	;;#ASMSTART
	v_add_f32 v16, v111, v16 row_shl:11 bound_ctrl:0 
	;;#ASMEND
	ds_bpermute_b32 v17, v112, v16
	;;#ASMSTART
	v_add_f32 v52, v82, v52 row_shl:10 bound_ctrl:0 
	;;#ASMEND
	;;#ASMSTART
	v_add_f32 v68, v65, v68 row_shl:9 bound_ctrl:0 
	;;#ASMEND
	;;#ASMSTART
	v_add_f32 v44, v61, v44 row_shl:9 bound_ctrl:0 
	;;#ASMEND
	;;#ASMSTART
	v_add_f32 v12, v73, v12 row_shl:9 bound_ctrl:0 
	;;#ASMEND
	s_waitcnt lgkmcnt(0)
	v_add_f32_e32 v16, v16, v17
	;;#ASMSTART
	v_add_f32 v52, v83, v52 row_shl:11 bound_ctrl:0 
	;;#ASMEND
	ds_bpermute_b32 v19, v112, v52
	v_add_f32_e32 v16, v16, v18
	;;#ASMSTART
	v_add_f32 v68, v66, v68 row_shl:10 bound_ctrl:0 
	;;#ASMEND
	scratch_store_dword off, v16, off offset:384
	;;#ASMSTART
	v_add_f32 v68, v67, v68 row_shl:11 bound_ctrl:0 
	;;#ASMEND
	s_waitcnt lgkmcnt(0)
	v_add_f32_e32 v16, v52, v19
	ds_bpermute_b32 v13, v114, v68
	v_add_f32_e32 v16, v16, v53
	scratch_store_dword off, v16, off offset:448
	scratch_load_dwordx4 v[52:55], off, off offset:784
	s_nop 0
	scratch_load_dwordx4 v[14:17], off, off offset:768
	scratch_load_dwordx4 v[64:67], off, off offset:816
	;; [unrolled: 1-line block ×3, first 2 shown]
	;;#ASMSTART
	v_add_f32 v44, v62, v44 row_shl:10 bound_ctrl:0 
	;;#ASMEND
	;;#ASMSTART
	v_add_f32 v12, v74, v12 row_shl:10 bound_ctrl:0 
	;;#ASMEND
	s_waitcnt lgkmcnt(0)
	v_add_f32_e32 v13, v68, v13
	;;#ASMSTART
	v_add_f32 v44, v63, v44 row_shl:11 bound_ctrl:0 
	;;#ASMEND
	ds_bpermute_b32 v19, v114, v44
	;;#ASMSTART
	v_add_f32 v12, v75, v12 row_shl:11 bound_ctrl:0 
	;;#ASMEND
	;;#ASMSTART
	v_add_f32 v40, v49, v40 row_shl:9 bound_ctrl:0 
	;;#ASMEND
	scratch_load_dwordx4 v[46:49], off, off offset:848
	scratch_load_dwordx4 v[60:63], off, off offset:832
	;; [unrolled: 1-line block ×4, first 2 shown]
	ds_bpermute_b32 v18, v112, v12
	ds_bpermute_b32 v13, v113, v13
	;;#ASMSTART
	v_add_f32 v40, v50, v40 row_shl:10 bound_ctrl:0 
	;;#ASMEND
	s_waitcnt vmcnt(18)
	;;#ASMSTART
	v_add_f32 v24, v25, v24 row_shl:1 bound_ctrl:0 
	;;#ASMEND
	s_waitcnt lgkmcnt(2)
	v_add_f32_e32 v19, v44, v19
	;;#ASMSTART
	v_add_f32 v40, v51, v40 row_shl:11 bound_ctrl:0 
	;;#ASMEND
	ds_bpermute_b32 v41, v112, v40
	;;#ASMSTART
	v_add_f32 v24, v26, v24 row_shl:2 bound_ctrl:0 
	;;#ASMEND
	ds_bpermute_b32 v19, v113, v19
	;;#ASMSTART
	v_add_f32 v24, v27, v24 row_shl:3 bound_ctrl:0 
	;;#ASMEND
	s_waitcnt lgkmcnt(3)
	v_add_f32_e32 v12, v12, v18
	;;#ASMSTART
	v_add_f32 v24, v20, v24 row_shl:8 bound_ctrl:0 
	;;#ASMEND
	s_waitcnt lgkmcnt(2)
	v_add_f32_e32 v12, v12, v13
	;;#ASMSTART
	v_add_f32 v24, v21, v24 row_shl:9 bound_ctrl:0 
	;;#ASMEND
	scratch_store_dword off, v12, off offset:512
	;;#ASMSTART
	v_add_f32 v24, v22, v24 row_shl:10 bound_ctrl:0 
	;;#ASMEND
	s_waitcnt lgkmcnt(1)
	v_add_f32_e32 v12, v40, v41
	s_waitcnt vmcnt(17)
	;;#ASMSTART
	v_add_f32 v0, v1, v0 row_shl:1 bound_ctrl:0 
	;;#ASMEND
	;;#ASMSTART
	v_add_f32 v24, v23, v24 row_shl:11 bound_ctrl:0 
	;;#ASMEND
	ds_bpermute_b32 v1, v114, v24
	s_waitcnt lgkmcnt(1)
	v_add_f32_e32 v12, v12, v19
	scratch_store_dword off, v12, off offset:576
	;;#ASMSTART
	v_add_f32 v0, v2, v0 row_shl:2 bound_ctrl:0 
	;;#ASMEND
	scratch_load_dwordx4 v[40:43], off, off offset:912
	scratch_load_dwordx4 v[18:21], off, off offset:896
	;; [unrolled: 1-line block ×4, first 2 shown]
	;;#ASMSTART
	v_add_f32 v0, v3, v0 row_shl:3 bound_ctrl:0 
	;;#ASMEND
	s_waitcnt vmcnt(18)
	;;#ASMSTART
	v_add_f32 v8, v9, v8 row_shl:1 bound_ctrl:0 
	;;#ASMEND
	;;#ASMSTART
	v_add_f32 v0, v28, v0 row_shl:8 bound_ctrl:0 
	;;#ASMEND
	s_nop 0
	;;#ASMSTART
	v_add_f32 v8, v10, v8 row_shl:2 bound_ctrl:0 
	;;#ASMEND
	s_waitcnt lgkmcnt(0)
	v_add_f32_e32 v1, v24, v1
	;;#ASMSTART
	v_add_f32 v0, v29, v0 row_shl:9 bound_ctrl:0 
	;;#ASMEND
	;;#ASMSTART
	v_add_f32 v8, v11, v8 row_shl:3 bound_ctrl:0 
	;;#ASMEND
	scratch_load_dwordx4 v[10:13], off, off offset:976
	scratch_load_dwordx4 v[22:25], off, off offset:960
	;; [unrolled: 1-line block ×4, first 2 shown]
	s_waitcnt vmcnt(20)
	;;#ASMSTART
	v_add_f32 v32, v33, v32 row_shl:1 bound_ctrl:0 
	;;#ASMEND
	;;#ASMSTART
	v_add_f32 v0, v30, v0 row_shl:10 bound_ctrl:0 
	;;#ASMEND
	;; [unrolled: 3-line block ×3, first 2 shown]
	ds_bpermute_b32 v1, v113, v1
	;;#ASMSTART
	v_add_f32 v32, v34, v32 row_shl:2 bound_ctrl:0 
	;;#ASMEND
	;;#ASMSTART
	v_add_f32 v0, v31, v0 row_shl:11 bound_ctrl:0 
	;;#ASMEND
	ds_bpermute_b32 v2, v112, v0
	;;#ASMSTART
	v_add_f32 v32, v35, v32 row_shl:3 bound_ctrl:0 
	;;#ASMEND
	;;#ASMSTART
	v_add_f32 v8, v5, v8 row_shl:9 bound_ctrl:0 
	;;#ASMEND
	s_waitcnt vmcnt(14)
	;;#ASMSTART
	v_add_f32 v56, v57, v56 row_shl:1 bound_ctrl:0 
	;;#ASMEND
	;;#ASMSTART
	v_add_f32 v32, v36, v32 row_shl:8 bound_ctrl:0 
	;;#ASMEND
	;; [unrolled: 3-line block ×3, first 2 shown]
	s_nop 0
	;;#ASMSTART
	v_add_f32 v56, v58, v56 row_shl:2 bound_ctrl:0 
	;;#ASMEND
	s_waitcnt lgkmcnt(0)
	v_add_f32_e32 v0, v0, v2
	;;#ASMSTART
	v_add_f32 v32, v37, v32 row_shl:9 bound_ctrl:0 
	;;#ASMEND
	;;#ASMSTART
	v_add_f32 v8, v7, v8 row_shl:11 bound_ctrl:0 
	;;#ASMEND
	ds_bpermute_b32 v4, v112, v8
	;;#ASMSTART
	v_add_f32 v32, v38, v32 row_shl:10 bound_ctrl:0 
	;;#ASMEND
	;;#ASMSTART
	v_add_f32 v56, v59, v56 row_shl:3 bound_ctrl:0 
	;;#ASMEND
	s_waitcnt vmcnt(10)
	;;#ASMSTART
	v_add_f32 v68, v69, v68 row_shl:1 bound_ctrl:0 
	;;#ASMEND
	v_add_f32_e32 v0, v0, v1
	;;#ASMSTART
	v_add_f32 v32, v39, v32 row_shl:11 bound_ctrl:0 
	;;#ASMEND
	ds_bpermute_b32 v3, v114, v32
	;;#ASMSTART
	v_add_f32 v56, v64, v56 row_shl:8 bound_ctrl:0 
	;;#ASMEND
	;;#ASMSTART
	v_add_f32 v68, v70, v68 row_shl:2 bound_ctrl:0 
	;;#ASMEND
	scratch_store_dword off, v0, off offset:640
	s_waitcnt lgkmcnt(1)
	v_add_f32_e32 v0, v8, v4
	s_waitcnt lgkmcnt(0)
	v_add_f32_e32 v3, v32, v3
	ds_bpermute_b32 v3, v113, v3
	;;#ASMSTART
	v_add_f32 v56, v65, v56 row_shl:9 bound_ctrl:0 
	;;#ASMEND
	;;#ASMSTART
	v_add_f32 v68, v71, v68 row_shl:3 bound_ctrl:0 
	;;#ASMEND
	;; [unrolled: 3-line block ×4, first 2 shown]
	s_waitcnt lgkmcnt(0)
	v_add_f32_e32 v0, v0, v3
	;;#ASMSTART
	v_add_f32 v56, v66, v56 row_shl:10 bound_ctrl:0 
	;;#ASMEND
	;;#ASMSTART
	v_add_f32 v68, v72, v68 row_shl:8 bound_ctrl:0 
	;;#ASMEND
	scratch_store_dword off, v0, off offset:704
	;;#ASMSTART
	v_add_f32 v14, v16, v14 row_shl:2 bound_ctrl:0 
	;;#ASMEND
	;;#ASMSTART
	v_add_f32 v56, v67, v56 row_shl:11 bound_ctrl:0 
	;;#ASMEND
	ds_bpermute_b32 v0, v114, v56
	;;#ASMSTART
	v_add_f32 v68, v73, v68 row_shl:9 bound_ctrl:0 
	;;#ASMEND
	;;#ASMSTART
	v_add_f32 v14, v17, v14 row_shl:3 bound_ctrl:0 
	;;#ASMEND
	;; [unrolled: 3-line block ×3, first 2 shown]
	s_waitcnt vmcnt(6)
	;;#ASMSTART
	v_add_f32 v76, v77, v76 row_shl:1 bound_ctrl:0 
	;;#ASMEND
	s_waitcnt lgkmcnt(0)
	v_add_f32_e32 v0, v56, v0
	;;#ASMSTART
	v_add_f32 v68, v74, v68 row_shl:10 bound_ctrl:0 
	;;#ASMEND
	;;#ASMSTART
	v_add_f32 v14, v52, v14 row_shl:8 bound_ctrl:0 
	;;#ASMEND
	;; [unrolled: 3-line block ×3, first 2 shown]
	ds_bpermute_b32 v0, v113, v0
	;;#ASMSTART
	v_add_f32 v68, v75, v68 row_shl:11 bound_ctrl:0 
	;;#ASMEND
	ds_bpermute_b32 v2, v114, v68
	;;#ASMSTART
	v_add_f32 v14, v53, v14 row_shl:9 bound_ctrl:0 
	;;#ASMEND
	;;#ASMSTART
	v_add_f32 v60, v46, v60 row_shl:8 bound_ctrl:0 
	;;#ASMEND
	;;#ASMSTART
	v_add_f32 v76, v78, v76 row_shl:2 bound_ctrl:0 
	;;#ASMEND
	s_waitcnt vmcnt(2)
	;;#ASMSTART
	v_add_f32 v26, v27, v26 row_shl:1 bound_ctrl:0 
	;;#ASMEND
	s_waitcnt lgkmcnt(0)
	v_add_f32_e32 v2, v68, v2
	;;#ASMSTART
	v_add_f32 v14, v54, v14 row_shl:10 bound_ctrl:0 
	;;#ASMEND
	;;#ASMSTART
	v_add_f32 v60, v47, v60 row_shl:9 bound_ctrl:0 
	;;#ASMEND
	ds_bpermute_b32 v2, v113, v2
	;;#ASMSTART
	v_add_f32 v14, v55, v14 row_shl:11 bound_ctrl:0 
	;;#ASMEND
	ds_bpermute_b32 v1, v112, v14
	;;#ASMSTART
	v_add_f32 v60, v48, v60 row_shl:10 bound_ctrl:0 
	;;#ASMEND
	;;#ASMSTART
	v_add_f32 v76, v79, v76 row_shl:3 bound_ctrl:0 
	;;#ASMEND
	;; [unrolled: 3-line block ×4, first 2 shown]
	s_waitcnt lgkmcnt(0)
	v_add_f32_e32 v1, v14, v1
	;;#ASMSTART
	v_add_f32 v60, v49, v60 row_shl:11 bound_ctrl:0 
	;;#ASMEND
	ds_bpermute_b32 v3, v112, v60
	v_add_f32_e32 v0, v1, v0
	;;#ASMSTART
	v_add_f32 v76, v80, v76 row_shl:8 bound_ctrl:0 
	;;#ASMEND
	scratch_store_dword off, v0, off offset:768
	;;#ASMSTART
	v_add_f32 v76, v81, v76 row_shl:9 bound_ctrl:0 
	;;#ASMEND
	s_waitcnt lgkmcnt(0)
	v_add_f32_e32 v0, v60, v3
	;;#ASMSTART
	v_add_f32 v26, v29, v26 row_shl:3 bound_ctrl:0 
	;;#ASMEND
	v_add_f32_e32 v0, v0, v2
	;;#ASMSTART
	v_add_f32 v76, v82, v76 row_shl:10 bound_ctrl:0 
	;;#ASMEND
	;;#ASMSTART
	v_add_f32 v26, v84, v26 row_shl:8 bound_ctrl:0 
	;;#ASMEND
	scratch_store_dword off, v0, off offset:832
	;;#ASMSTART
	v_add_f32 v18, v20, v18 row_shl:2 bound_ctrl:0 
	;;#ASMEND
	;;#ASMSTART
	v_add_f32 v76, v83, v76 row_shl:11 bound_ctrl:0 
	;;#ASMEND
	ds_bpermute_b32 v0, v114, v76
	;;#ASMSTART
	v_add_f32 v26, v85, v26 row_shl:9 bound_ctrl:0 
	;;#ASMEND
	;;#ASMSTART
	v_add_f32 v18, v21, v18 row_shl:3 bound_ctrl:0 
	;;#ASMEND
	;;#ASMSTART
	v_add_f32 v22, v23, v22 row_shl:1 bound_ctrl:0 
	;;#ASMEND
	s_waitcnt lgkmcnt(0)
	v_add_f32_e32 v0, v76, v0
	;;#ASMSTART
	v_add_f32 v26, v86, v26 row_shl:10 bound_ctrl:0 
	;;#ASMEND
	;;#ASMSTART
	v_add_f32 v18, v40, v18 row_shl:8 bound_ctrl:0 
	;;#ASMEND
	;; [unrolled: 3-line block ×3, first 2 shown]
	ds_bpermute_b32 v0, v113, v0
	;;#ASMSTART
	v_add_f32 v26, v87, v26 row_shl:11 bound_ctrl:0 
	;;#ASMEND
	ds_bpermute_b32 v2, v114, v26
	;;#ASMSTART
	v_add_f32 v18, v41, v18 row_shl:9 bound_ctrl:0 
	;;#ASMEND
	;;#ASMSTART
	v_add_f32 v22, v25, v22 row_shl:3 bound_ctrl:0 
	;;#ASMEND
	s_waitcnt lgkmcnt(0)
	v_add_f32_e32 v2, v26, v2
	;;#ASMSTART
	v_add_f32 v18, v42, v18 row_shl:10 bound_ctrl:0 
	;;#ASMEND
	;;#ASMSTART
	v_add_f32 v22, v10, v22 row_shl:8 bound_ctrl:0 
	;;#ASMEND
	ds_bpermute_b32 v2, v113, v2
	;;#ASMSTART
	v_add_f32 v18, v43, v18 row_shl:11 bound_ctrl:0 
	;;#ASMEND
	ds_bpermute_b32 v1, v112, v18
	;;#ASMSTART
	v_add_f32 v22, v11, v22 row_shl:9 bound_ctrl:0 
	;;#ASMEND
	s_waitcnt lgkmcnt(0)
	v_add_f32_e32 v1, v18, v1
	;;#ASMSTART
	v_add_f32 v22, v12, v22 row_shl:10 bound_ctrl:0 
	;;#ASMEND
	v_add_f32_e32 v0, v1, v0
	;;#ASMSTART
	v_add_f32 v22, v13, v22 row_shl:11 bound_ctrl:0 
	;;#ASMEND
	ds_bpermute_b32 v3, v112, v22
	scratch_store_dword off, v0, off offset:896
	s_waitcnt lgkmcnt(0)
	v_add_f32_e32 v0, v22, v3
	v_add_f32_e32 v0, v0, v2
	scratch_store_dword off, v0, off offset:960
	s_mov_b64 s[20:21], exec
	s_and_b64 s[24:25], s[20:21], s[0:1]
	v_mov_b32_e32 v105, v119
	s_mov_b64 exec, s[24:25]
	s_cbranch_execz .LBB46_6
; %bb.16:                               ;   in Loop: Header=BB46_7 Depth=1
	scratch_load_dwordx4 v[0:3], off, off
	scratch_load_dwordx4 v[2:5], off, off offset:64
	scratch_load_dwordx4 v[4:7], off, off offset:128
	;; [unrolled: 1-line block ×15, first 2 shown]
	v_add_u32_e32 v104, s6, v118
	v_lshl_add_u64 v[48:49], v[104:105], 1, s[12:13]
	s_waitcnt vmcnt(0)
	v_add_u32_e32 v32, 1, v104
	v_add_u32_e32 v34, 2, v104
	;; [unrolled: 1-line block ×4, first 2 shown]
	v_mov_b32_e32 v119, v105
	v_lshl_add_u64 v[50:51], v[104:105], 1, s[12:13]
	v_add_u32_e32 v38, 2, v104
	v_add_u32_e32 v40, 3, v104
	;; [unrolled: 1-line block ×3, first 2 shown]
	v_mov_b32_e32 v33, v105
	v_mov_b32_e32 v35, v105
	;; [unrolled: 1-line block ×7, first 2 shown]
	v_lshl_add_u64 v[46:47], v[118:119], 1, s[12:13]
	v_add_u32_e32 v42, 1, v104
	v_add_u32_e32 v44, 2, v104
	v_lshl_add_u64 v[32:33], v[32:33], 1, s[12:13]
	v_lshl_add_u64 v[34:35], v[34:35], 1, s[12:13]
	;; [unrolled: 1-line block ×7, first 2 shown]
	v_add_u32_e32 v104, 3, v104
	v_mul_f32_e32 v0, s7, v0
	v_mul_f32_e32 v2, s7, v2
	;; [unrolled: 1-line block ×5, first 2 shown]
	v_fma_mixlo_f16 v0, s22, v0, 0
	v_fma_mixlo_f16 v1, s22, v1, 0
	v_mul_f32_e32 v5, s7, v10
	v_mul_f32_e32 v8, s7, v16
	;; [unrolled: 1-line block ×10, first 2 shown]
	v_fma_mixlo_f16 v8, s22, v8, 0
	v_fma_mixhi_f16 v1, s22, v3, 0
	v_fma_mixhi_f16 v0, s22, v2, 0
	v_fma_mixlo_f16 v4, s22, v4, 0
	v_fma_mixlo_f16 v5, s22, v5, 0
	v_fma_mixlo_f16 v6, s22, v6, 0
	v_fma_mixlo_f16 v7, s22, v7, 0
	v_fma_mixlo_f16 v10, s22, v10, 0
	v_fma_mixlo_f16 v11, s22, v11, 0
	v_fma_mixlo_f16 v12, s22, v12, 0
	v_fma_mixlo_f16 v13, s22, v13, 0
	v_fma_mixlo_f16 v14, s22, v14, 0
	v_fma_mixhi_f16 v8, s22, v9, 0
	global_store_dwordx2 v[46:47], v[0:1], off
	global_store_short v[48:49], v4, off
	global_store_short v[32:33], v5, off
	global_store_short v[34:35], v6, off
	global_store_short v[36:37], v7, off
	global_store_dword v[50:51], v8, off
	global_store_short v[38:39], v10, off
	global_store_short v[40:41], v11, off
	;; [unrolled: 1-line block ×4, first 2 shown]
	v_lshl_add_u64 v[0:1], v[44:45], 1, s[12:13]
	global_store_short v[0:1], v14, off
	v_mul_f32_e32 v0, s7, v30
	v_fma_mixlo_f16 v2, s22, v0, 0
	v_lshl_add_u64 v[0:1], v[104:105], 1, s[12:13]
	global_store_short v[0:1], v2, off
	s_branch .LBB46_6
.LBB46_17:
	s_endpgm
	.section	.rodata,"a",@progbits
	.p2align	6, 0x0
	.amdhsa_kernel _Z17wvSplitKQ_hf_sml_I6__halfN3c1015Float8_e4m3fnuzELi64ELi4ELi16ELi16ELi1ELi4EEviiiPKT0_S5_PT_PKfS9_ii
		.amdhsa_group_segment_fixed_size 65536
		.amdhsa_private_segment_fixed_size 1984
		.amdhsa_kernarg_size 64
		.amdhsa_user_sgpr_count 2
		.amdhsa_user_sgpr_dispatch_ptr 0
		.amdhsa_user_sgpr_queue_ptr 0
		.amdhsa_user_sgpr_kernarg_segment_ptr 1
		.amdhsa_user_sgpr_dispatch_id 0
		.amdhsa_user_sgpr_kernarg_preload_length 0
		.amdhsa_user_sgpr_kernarg_preload_offset 0
		.amdhsa_user_sgpr_private_segment_size 0
		.amdhsa_uses_dynamic_stack 0
		.amdhsa_enable_private_segment 1
		.amdhsa_system_sgpr_workgroup_id_x 1
		.amdhsa_system_sgpr_workgroup_id_y 0
		.amdhsa_system_sgpr_workgroup_id_z 0
		.amdhsa_system_sgpr_workgroup_info 0
		.amdhsa_system_vgpr_workitem_id 1
		.amdhsa_next_free_vgpr 128
		.amdhsa_next_free_sgpr 28
		.amdhsa_accum_offset 128
		.amdhsa_reserve_vcc 1
		.amdhsa_float_round_mode_32 0
		.amdhsa_float_round_mode_16_64 0
		.amdhsa_float_denorm_mode_32 3
		.amdhsa_float_denorm_mode_16_64 3
		.amdhsa_dx10_clamp 1
		.amdhsa_ieee_mode 1
		.amdhsa_fp16_overflow 0
		.amdhsa_tg_split 0
		.amdhsa_exception_fp_ieee_invalid_op 0
		.amdhsa_exception_fp_denorm_src 0
		.amdhsa_exception_fp_ieee_div_zero 0
		.amdhsa_exception_fp_ieee_overflow 0
		.amdhsa_exception_fp_ieee_underflow 0
		.amdhsa_exception_fp_ieee_inexact 0
		.amdhsa_exception_int_div_zero 0
	.end_amdhsa_kernel
	.section	.text._Z17wvSplitKQ_hf_sml_I6__halfN3c1015Float8_e4m3fnuzELi64ELi4ELi16ELi16ELi1ELi4EEviiiPKT0_S5_PT_PKfS9_ii,"axG",@progbits,_Z17wvSplitKQ_hf_sml_I6__halfN3c1015Float8_e4m3fnuzELi64ELi4ELi16ELi16ELi1ELi4EEviiiPKT0_S5_PT_PKfS9_ii,comdat
.Lfunc_end46:
	.size	_Z17wvSplitKQ_hf_sml_I6__halfN3c1015Float8_e4m3fnuzELi64ELi4ELi16ELi16ELi1ELi4EEviiiPKT0_S5_PT_PKfS9_ii, .Lfunc_end46-_Z17wvSplitKQ_hf_sml_I6__halfN3c1015Float8_e4m3fnuzELi64ELi4ELi16ELi16ELi1ELi4EEviiiPKT0_S5_PT_PKfS9_ii
                                        ; -- End function
	.section	.AMDGPU.csdata,"",@progbits
; Kernel info:
; codeLenInByte = 7844
; NumSgprs: 34
; NumVgprs: 128
; NumAgprs: 0
; TotalNumVgprs: 128
; ScratchSize: 1984
; MemoryBound: 0
; FloatMode: 240
; IeeeMode: 1
; LDSByteSize: 65536 bytes/workgroup (compile time only)
; SGPRBlocks: 4
; VGPRBlocks: 15
; NumSGPRsForWavesPerEU: 34
; NumVGPRsForWavesPerEU: 128
; AccumOffset: 128
; Occupancy: 4
; WaveLimiterHint : 1
; COMPUTE_PGM_RSRC2:SCRATCH_EN: 1
; COMPUTE_PGM_RSRC2:USER_SGPR: 2
; COMPUTE_PGM_RSRC2:TRAP_HANDLER: 0
; COMPUTE_PGM_RSRC2:TGID_X_EN: 1
; COMPUTE_PGM_RSRC2:TGID_Y_EN: 0
; COMPUTE_PGM_RSRC2:TGID_Z_EN: 0
; COMPUTE_PGM_RSRC2:TIDIG_COMP_CNT: 1
; COMPUTE_PGM_RSRC3_GFX90A:ACCUM_OFFSET: 31
; COMPUTE_PGM_RSRC3_GFX90A:TG_SPLIT: 0
	.section	.text._Z13wvSplitKQ_hf_I6__halfN3c1015Float8_e4m3fnuzELi64ELi7ELi16ELi16ELi1ELi4EEviiiPKT0_S5_PT_PKfS9_ii,"axG",@progbits,_Z13wvSplitKQ_hf_I6__halfN3c1015Float8_e4m3fnuzELi64ELi7ELi16ELi16ELi1ELi4EEviiiPKT0_S5_PT_PKfS9_ii,comdat
	.protected	_Z13wvSplitKQ_hf_I6__halfN3c1015Float8_e4m3fnuzELi64ELi7ELi16ELi16ELi1ELi4EEviiiPKT0_S5_PT_PKfS9_ii ; -- Begin function _Z13wvSplitKQ_hf_I6__halfN3c1015Float8_e4m3fnuzELi64ELi7ELi16ELi16ELi1ELi4EEviiiPKT0_S5_PT_PKfS9_ii
	.globl	_Z13wvSplitKQ_hf_I6__halfN3c1015Float8_e4m3fnuzELi64ELi7ELi16ELi16ELi1ELi4EEviiiPKT0_S5_PT_PKfS9_ii
	.p2align	8
	.type	_Z13wvSplitKQ_hf_I6__halfN3c1015Float8_e4m3fnuzELi64ELi7ELi16ELi16ELi1ELi4EEviiiPKT0_S5_PT_PKfS9_ii,@function
_Z13wvSplitKQ_hf_I6__halfN3c1015Float8_e4m3fnuzELi64ELi7ELi16ELi16ELi1ELi4EEviiiPKT0_S5_PT_PKfS9_ii: ; @_Z13wvSplitKQ_hf_I6__halfN3c1015Float8_e4m3fnuzELi64ELi7ELi16ELi16ELi1ELi4EEviiiPKT0_S5_PT_PKfS9_ii
; %bb.0:
	s_load_dwordx4 s[20:23], s[0:1], 0x0
	s_load_dwordx2 s[24:25], s[0:1], 0x18
	s_load_dwordx4 s[4:7], s[0:1], 0x28
	v_bfe_u32 v1, v0, 10, 10
	v_and_b32_e32 v0, 0x3ff, v0
	v_lshlrev_b32_e32 v4, 4, v0
	v_mov_b32_e32 v2, v4
	s_waitcnt lgkmcnt(0)
	s_lshl_b32 s3, s20, 2
	scratch_store_dwordx2 off, v[2:3], off offset:3704 ; 8-byte Folded Spill
	v_lshl_add_u32 v2, v1, 10, v4
	s_min_i32 s3, s3, 0x10000
	v_cmp_gt_u32_e32 vcc, s3, v2
	s_and_saveexec_b64 s[8:9], vcc
	s_cbranch_execz .LBB47_3
; %bb.1:
	s_mov_b64 s[10:11], 0
.LBB47_2:                               ; =>This Inner Loop Header: Depth=1
	global_load_dwordx4 v[4:7], v2, s[24:25]
	s_waitcnt vmcnt(0)
	ds_write_b128 v2, v[4:7]
	v_add_u32_e32 v2, 0x4000, v2
	v_cmp_le_u32_e32 vcc, s3, v2
	s_or_b64 s[10:11], vcc, s[10:11]
	s_andn2_b64 exec, exec, s[10:11]
	s_cbranch_execnz .LBB47_2
.LBB47_3:
	s_or_b64 exec, exec, s[8:9]
	s_load_dwordx2 s[8:9], s[0:1], 0x38
	s_waitcnt lgkmcnt(0)
	s_barrier
	v_cmp_gt_u32_e32 vcc, s8, v1
	s_and_saveexec_b64 s[10:11], vcc
	s_cbranch_execz .LBB47_67
; %bb.4:
	s_mul_i32 s2, s2, s8
	v_add_u32_e32 v1, s2, v1
	v_mul_lo_u32 v10, v1, 7
	v_cmp_gt_u32_e32 vcc, s22, v10
	s_and_b64 exec, exec, vcc
	s_cbranch_execz .LBB47_67
; %bb.5:
	s_load_dword s23, s[4:5], 0x0
	s_load_dword s33, s[6:7], 0x0
	s_load_dwordx2 s[26:27], s[0:1], 0x10
	s_load_dwordx2 s[28:29], s[0:1], 0x20
	scratch_load_dwordx2 v[2:3], off, off offset:3704 ; 8-byte Folded Reload
	s_mov_b32 s4, 0
	v_cmp_eq_u32_e64 s[0:1], 0, v0
	v_mul_lo_u32 v0, s21, v1
	s_mov_b32 s5, s4
	s_mov_b32 s6, s4
	;; [unrolled: 1-line block ×3, first 2 shown]
	s_mul_i32 s38, s8, s9
	s_cmp_lg_u32 s20, 0
	s_mul_i32 s38, s38, 7
	s_cselect_b64 s[30:31], -1, 0
	s_lshl_b32 s39, s22, 1
	s_mul_i32 s40, s22, 3
	s_mul_i32 s41, s38, s21
	s_ashr_i32 s35, s21, 31
	s_mov_b32 s34, s21
	s_mov_b64 s[36:37], 0
	v_mov_b32_e32 v19, 0
	s_mov_b32 s21, 0xffff
	s_waitcnt vmcnt(0)
	v_mad_u64_u32 v[0:1], s[2:3], v0, 7, v[2:3]
	scratch_store_dwordx2 off, v[0:1], off offset:3848 ; 8-byte Folded Spill
	v_mov_b64_e32 v[0:1], s[4:5]
	v_mov_b64_e32 v[2:3], s[6:7]
	scratch_store_dwordx4 off, v[0:3], off offset:3856 ; 16-byte Folded Spill
	s_nop 1
	v_mbcnt_lo_u32_b32 v0, -1, 0
	v_mbcnt_hi_u32_b32 v0, -1, v0
	v_lshlrev_b32_e32 v0, 2, v0
	v_and_b32_e32 v20, 0x100, v0
	scratch_store_dword off, v20, off offset:3872 ; 4-byte Folded Spill
	s_branch .LBB47_7
.LBB47_6:                               ;   in Loop: Header=BB47_7 Depth=1
	s_or_b64 exec, exec, s[6:7]
	scratch_load_dwordx2 v[0:1], off, off offset:3848 ; 8-byte Folded Reload
	s_waitcnt vmcnt(1)
	v_add_u32_e32 v10, s38, v10
	v_cmp_le_u32_e32 vcc, s22, v10
	s_or_b64 s[36:37], vcc, s[36:37]
	s_waitcnt vmcnt(0)
	v_add_u32_e32 v0, s41, v0
	scratch_store_dwordx2 off, v[0:1], off offset:3848 ; 8-byte Folded Spill
	s_andn2_b64 exec, exec, s[36:37]
	s_cbranch_execz .LBB47_67
.LBB47_7:                               ; =>This Loop Header: Depth=1
                                        ;     Child Loop BB47_11 Depth 2
                                        ;       Child Loop BB47_13 Depth 3
                                        ;     Child Loop BB47_31 Depth 2
                                        ;     Child Loop BB47_33 Depth 2
	;; [unrolled: 1-line block ×4, first 2 shown]
	scratch_load_dwordx4 v[0:3], off, off offset:3856 ; 16-byte Folded Reload
	s_and_b64 vcc, exec, s[30:31]
	scratch_store_dwordx2 off, v[10:11], off offset:3840 ; 8-byte Folded Spill
	s_waitcnt vmcnt(1)
	scratch_store_dwordx4 off, v[0:3], off offset:48
	scratch_store_dwordx4 off, v[0:3], off offset:32
	;; [unrolled: 1-line block ×3, first 2 shown]
	scratch_store_dwordx4 off, v[0:3], off
	scratch_store_dwordx4 off, v[0:3], off offset:496
	scratch_store_dwordx4 off, v[0:3], off offset:480
	;; [unrolled: 1-line block ×108, first 2 shown]
	s_cbranch_vccz .LBB47_30
; %bb.8:                                ;   in Loop: Header=BB47_7 Depth=1
	scratch_load_dwordx2 v[16:17], off, off offset:3848 ; 8-byte Folded Reload
	s_mov_b32 s5, s4
	s_mov_b32 s6, s4
	;; [unrolled: 1-line block ×15, first 2 shown]
	v_mov_b64_e32 v[0:1], s[4:5]
	v_mov_b64_e32 v[14:15], s[18:19]
	;; [unrolled: 1-line block ×9, first 2 shown]
	s_mov_b32 s42, 0
	v_mov_b64_e32 v[124:125], v[12:13]
	v_mov_b64_e32 v[122:123], v[10:11]
	;; [unrolled: 1-line block ×7, first 2 shown]
	scratch_store_dwordx4 off, v[0:3], off offset:3320 ; 16-byte Folded Spill
	s_nop 0
	scratch_store_dwordx4 off, v[4:7], off offset:3336 ; 16-byte Folded Spill
	scratch_store_dwordx4 off, v[8:11], off offset:3352 ; 16-byte Folded Spill
	scratch_store_dwordx4 off, v[12:15], off offset:3368 ; 16-byte Folded Spill
	scratch_store_dwordx4 off, v[0:3], off offset:3384 ; 16-byte Folded Spill
	s_nop 0
	scratch_store_dwordx4 off, v[4:7], off offset:3400 ; 16-byte Folded Spill
	scratch_store_dwordx4 off, v[8:11], off offset:3416 ; 16-byte Folded Spill
	scratch_store_dwordx4 off, v[12:15], off offset:3432 ; 16-byte Folded Spill
	;; [unrolled: 5-line block ×27, first 2 shown]
	s_waitcnt vmcnt(62)
	v_mov_b32_e32 v18, v16
	s_branch .LBB47_11
.LBB47_9:                               ;   in Loop: Header=BB47_11 Depth=2
	s_or_b64 exec, exec, s[6:7]
	scratch_load_dwordx4 v[120:123], off, off offset:1792
	scratch_load_dwordx4 v[16:19], off, off offset:1808
	s_waitcnt vmcnt(0)
	scratch_store_dwordx4 off, v[16:19], off offset:3824 ; 16-byte Folded Spill
	scratch_load_dwordx4 v[0:3], off, off offset:2744 ; 16-byte Folded Reload
	scratch_load_dwordx4 v[4:7], off, off offset:2760 ; 16-byte Folded Reload
	;; [unrolled: 1-line block ×8, first 2 shown]
	s_waitcnt vmcnt(0) lgkmcnt(0)
	v_mfma_f32_32x32x16_fp8_fp8 v[52:67], v[48:49], v[16:17], v[52:67]
	s_nop 7
	s_nop 2
	v_mov_b64_e32 v[70:71], v[66:67]
	v_mov_b64_e32 v[68:69], v[64:65]
	;; [unrolled: 1-line block ×8, first 2 shown]
	scratch_load_dwordx4 v[52:55], off, off offset:1824
	scratch_load_dwordx4 v[20:23], off, off offset:1840
	v_mfma_f32_32x32x16_fp8_fp8 v[0:15], v[48:49], v[120:121], v[0:15]
	s_waitcnt vmcnt(0)
	scratch_store_dwordx4 off, v[20:23], off offset:3808 ; 16-byte Folded Spill
	scratch_load_dwordx4 v[72:75], off, off offset:2616 ; 16-byte Folded Reload
	scratch_load_dwordx4 v[76:79], off, off offset:2632 ; 16-byte Folded Reload
	;; [unrolled: 1-line block ×8, first 2 shown]
	scratch_load_dwordx4 v[16:19], off, off offset:1856
	scratch_load_dwordx4 v[32:35], off, off offset:1872
	v_mfma_f32_32x32x16_fp8_fp8 v[0:15], v[50:51], v[122:123], v[0:15]
	s_waitcnt vmcnt(1)
	scratch_store_dwordx4 off, v[16:19], off offset:3792 ; 16-byte Folded Spill
	s_waitcnt vmcnt(1)
	scratch_store_dwordx4 off, v[32:35], off offset:3304 ; 16-byte Folded Spill
	scratch_load_dwordx4 v[104:107], off, off offset:2488 ; 16-byte Folded Reload
	scratch_load_dwordx4 v[108:111], off, off offset:2504 ; 16-byte Folded Reload
	;; [unrolled: 1-line block ×4, first 2 shown]
	v_mfma_f32_32x32x16_fp8_fp8 v[88:103], v[48:49], v[20:21], v[88:103]
	v_mfma_f32_32x32x16_fp8_fp8 v[72:87], v[48:49], v[52:53], v[72:87]
	;; [unrolled: 1-line block ×3, first 2 shown]
	s_waitcnt vmcnt(0)
	v_mfma_f32_32x32x16_fp8_fp8 v[104:119], v[48:49], v[16:17], v[104:119]
	scratch_load_dwordx4 v[16:19], off, off offset:2424 ; 16-byte Folded Reload
	scratch_load_dwordx4 v[20:23], off, off offset:2440 ; 16-byte Folded Reload
	;; [unrolled: 1-line block ×4, first 2 shown]
	s_waitcnt vmcnt(0)
	v_mfma_f32_32x32x16_fp8_fp8 v[16:31], v[48:49], v[32:33], v[16:31]
	scratch_load_dwordx4 v[124:127], off, off offset:1888
	scratch_load_dwordx4 v[32:35], off, off offset:1968 ; 16-byte Folded Reload
	scratch_load_dwordx4 v[36:39], off, off offset:1984 ; 16-byte Folded Reload
	;; [unrolled: 1-line block ×4, first 2 shown]
	s_waitcnt vmcnt(0)
	v_mfma_f32_32x32x16_fp8_fp8 v[32:47], v[48:49], v[124:125], v[32:47]
	s_nop 7
	s_nop 2
	scratch_store_dwordx4 off, v[32:35], off offset:1968 ; 16-byte Folded Spill
	s_nop 0
	scratch_store_dwordx4 off, v[36:39], off offset:1984 ; 16-byte Folded Spill
	scratch_store_dwordx4 off, v[40:43], off offset:2000 ; 16-byte Folded Spill
	;; [unrolled: 1-line block ×4, first 2 shown]
	s_nop 0
	scratch_store_dwordx4 off, v[4:7], off offset:2760 ; 16-byte Folded Spill
	scratch_store_dwordx4 off, v[8:11], off offset:2776 ; 16-byte Folded Spill
	;; [unrolled: 1-line block ×3, first 2 shown]
	scratch_load_dwordx4 v[40:43], off, off offset:3824 ; 16-byte Folded Reload
	s_waitcnt vmcnt(0)
	v_mfma_f32_32x32x16_fp8_fp8 v[56:71], v[50:51], v[42:43], v[56:71]
	s_nop 7
	s_nop 2
	scratch_store_dwordx4 off, v[56:59], off offset:2680 ; 16-byte Folded Spill
	s_nop 0
	scratch_store_dwordx4 off, v[60:63], off offset:2696 ; 16-byte Folded Spill
	scratch_store_dwordx4 off, v[64:67], off offset:2712 ; 16-byte Folded Spill
	;; [unrolled: 1-line block ×4, first 2 shown]
	s_nop 0
	scratch_store_dwordx4 off, v[76:79], off offset:2632 ; 16-byte Folded Spill
	scratch_store_dwordx4 off, v[80:83], off offset:2648 ; 16-byte Folded Spill
	;; [unrolled: 1-line block ×3, first 2 shown]
	scratch_load_dwordx4 v[60:63], off, off offset:3808 ; 16-byte Folded Reload
	v_mov_b64_e32 v[32:33], v[40:41]
	v_mov_b64_e32 v[34:35], v[42:43]
	s_waitcnt vmcnt(0)
	v_mfma_f32_32x32x16_fp8_fp8 v[88:103], v[50:51], v[62:63], v[88:103]
	s_nop 7
	s_nop 2
	scratch_store_dwordx4 off, v[88:91], off offset:2552 ; 16-byte Folded Spill
	s_nop 0
	scratch_store_dwordx4 off, v[92:95], off offset:2568 ; 16-byte Folded Spill
	scratch_store_dwordx4 off, v[96:99], off offset:2584 ; 16-byte Folded Spill
	;; [unrolled: 1-line block ×3, first 2 shown]
	scratch_load_dwordx4 v[36:39], off, off offset:3792 ; 16-byte Folded Reload
	v_mov_b64_e32 v[40:41], v[60:61]
	v_mov_b64_e32 v[42:43], v[62:63]
	s_waitcnt vmcnt(0)
	v_mfma_f32_32x32x16_fp8_fp8 v[104:119], v[50:51], v[38:39], v[104:119]
	s_nop 7
	s_nop 2
	scratch_store_dwordx4 off, v[104:107], off offset:2488 ; 16-byte Folded Spill
	s_nop 0
	scratch_store_dwordx4 off, v[108:111], off offset:2504 ; 16-byte Folded Spill
	scratch_store_dwordx4 off, v[112:115], off offset:2520 ; 16-byte Folded Spill
	;; [unrolled: 1-line block ×3, first 2 shown]
	scratch_load_dwordx4 v[44:47], off, off offset:3304 ; 16-byte Folded Reload
	s_waitcnt vmcnt(0)
	v_mfma_f32_32x32x16_fp8_fp8 v[16:31], v[50:51], v[46:47], v[16:31]
	s_nop 7
	s_nop 2
	scratch_store_dwordx4 off, v[16:19], off offset:2424 ; 16-byte Folded Spill
	s_nop 0
	scratch_store_dwordx4 off, v[20:23], off offset:2440 ; 16-byte Folded Spill
	scratch_store_dwordx4 off, v[24:27], off offset:2456 ; 16-byte Folded Spill
	;; [unrolled: 1-line block ×3, first 2 shown]
	scratch_load_dwordx4 v[0:3], off, off offset:1968 ; 16-byte Folded Reload
	scratch_load_dwordx4 v[4:7], off, off offset:1984 ; 16-byte Folded Reload
	;; [unrolled: 1-line block ×4, first 2 shown]
	s_waitcnt vmcnt(0)
	v_mfma_f32_32x32x16_fp8_fp8 v[0:15], v[50:51], v[126:127], v[0:15]
	s_nop 7
	s_nop 2
	scratch_store_dwordx4 off, v[0:3], off offset:1968 ; 16-byte Folded Spill
	s_nop 0
	scratch_store_dwordx4 off, v[4:7], off offset:1984 ; 16-byte Folded Spill
	scratch_store_dwordx4 off, v[8:11], off offset:2000 ; 16-byte Folded Spill
	;; [unrolled: 1-line block ×3, first 2 shown]
	v_mov_b64_e32 v[48:49], v[120:121]
	scratch_load_dwordx4 v[16:19], off, off offset:3192 ; 16-byte Folded Reload
	scratch_load_dwordx4 v[20:23], off, off offset:3208 ; 16-byte Folded Reload
	;; [unrolled: 1-line block ×4, first 2 shown]
	v_mov_b64_e32 v[50:51], v[122:123]
	scratch_load_dwordx4 v[120:123], off, off offset:3288 ; 16-byte Folded Reload
	s_waitcnt vmcnt(0)
	v_mfma_f32_32x32x16_fp8_fp8 v[16:31], v[120:121], v[48:49], v[16:31]
	scratch_store_dwordx4 off, v[48:51], off offset:3776 ; 16-byte Folded Spill
	scratch_load_dwordx4 v[0:3], off, off offset:3128 ; 16-byte Folded Reload
	scratch_load_dwordx4 v[4:7], off, off offset:3144 ; 16-byte Folded Reload
	scratch_load_dwordx4 v[8:11], off, off offset:3160 ; 16-byte Folded Reload
	scratch_load_dwordx4 v[12:15], off, off offset:3176 ; 16-byte Folded Reload
	s_waitcnt vmcnt(0)
	v_mfma_f32_32x32x16_fp8_fp8 v[0:15], v[120:121], v[32:33], v[0:15]
	s_nop 7
	s_nop 2
	v_mov_b64_e32 v[118:119], v[14:15]
	v_mov_b64_e32 v[116:117], v[12:13]
	v_mov_b64_e32 v[114:115], v[10:11]
	v_mov_b64_e32 v[112:113], v[8:9]
	v_mov_b64_e32 v[110:111], v[6:7]
	v_mov_b64_e32 v[108:109], v[4:5]
	v_mov_b64_e32 v[106:107], v[2:3]
	v_mov_b64_e32 v[104:105], v[0:1]
	scratch_load_dwordx4 v[0:3], off, off offset:3064 ; 16-byte Folded Reload
	scratch_load_dwordx4 v[4:7], off, off offset:3080 ; 16-byte Folded Reload
	scratch_load_dwordx4 v[8:11], off, off offset:3096 ; 16-byte Folded Reload
	scratch_load_dwordx4 v[12:15], off, off offset:3112 ; 16-byte Folded Reload
	s_waitcnt vmcnt(0)
	v_mfma_f32_32x32x16_fp8_fp8 v[0:15], v[120:121], v[52:53], v[0:15]
	s_nop 7
	s_nop 2
	v_mov_b64_e32 v[102:103], v[14:15]
	v_mov_b64_e32 v[100:101], v[12:13]
	v_mov_b64_e32 v[98:99], v[10:11]
	v_mov_b64_e32 v[96:97], v[8:9]
	v_mov_b64_e32 v[94:95], v[6:7]
	v_mov_b64_e32 v[92:93], v[4:5]
	v_mov_b64_e32 v[90:91], v[2:3]
	v_mov_b64_e32 v[88:89], v[0:1]
	;; [unrolled: 16-line block ×4, first 2 shown]
	scratch_load_dwordx4 v[0:3], off, off offset:2032 ; 16-byte Folded Reload
	scratch_load_dwordx4 v[4:7], off, off offset:2048 ; 16-byte Folded Reload
	;; [unrolled: 1-line block ×4, first 2 shown]
	s_waitcnt vmcnt(0)
	v_mfma_f32_32x32x16_fp8_fp8 v[0:15], v[120:121], v[44:45], v[0:15]
	s_nop 7
	s_nop 2
	scratch_store_dwordx4 off, v[0:3], off offset:2032 ; 16-byte Folded Spill
	s_nop 0
	scratch_store_dwordx4 off, v[4:7], off offset:2048 ; 16-byte Folded Spill
	scratch_store_dwordx4 off, v[8:11], off offset:2064 ; 16-byte Folded Spill
	;; [unrolled: 1-line block ×3, first 2 shown]
	v_mfma_f32_32x32x16_fp8_fp8 v[16:31], v[122:123], v[50:51], v[16:31]
	v_mov_b64_e32 v[50:51], v[38:39]
	scratch_load_dwordx4 v[0:3], off, off offset:2872 ; 16-byte Folded Reload
	scratch_load_dwordx4 v[4:7], off, off offset:2888 ; 16-byte Folded Reload
	;; [unrolled: 1-line block ×4, first 2 shown]
	s_nop 5
	scratch_store_dwordx4 off, v[16:19], off offset:3192 ; 16-byte Folded Spill
	s_nop 0
	scratch_store_dwordx4 off, v[20:23], off offset:3208 ; 16-byte Folded Spill
	scratch_store_dwordx4 off, v[24:27], off offset:3224 ; 16-byte Folded Spill
	;; [unrolled: 1-line block ×3, first 2 shown]
	v_mfma_f32_32x32x16_fp8_fp8 v[104:119], v[122:123], v[34:35], v[104:119]
	s_nop 7
	s_nop 2
	scratch_store_dwordx4 off, v[104:107], off offset:3128 ; 16-byte Folded Spill
	s_nop 0
	scratch_store_dwordx4 off, v[108:111], off offset:3144 ; 16-byte Folded Spill
	scratch_store_dwordx4 off, v[112:115], off offset:3160 ; 16-byte Folded Spill
	;; [unrolled: 1-line block ×3, first 2 shown]
	v_mfma_f32_32x32x16_fp8_fp8 v[88:103], v[122:123], v[54:55], v[88:103]
	s_nop 7
	s_nop 2
	scratch_store_dwordx4 off, v[88:91], off offset:3064 ; 16-byte Folded Spill
	s_nop 0
	scratch_store_dwordx4 off, v[92:95], off offset:3080 ; 16-byte Folded Spill
	scratch_store_dwordx4 off, v[96:99], off offset:3096 ; 16-byte Folded Spill
	;; [unrolled: 1-line block ×3, first 2 shown]
	v_mfma_f32_32x32x16_fp8_fp8 v[72:87], v[122:123], v[42:43], v[72:87]
	v_mov_b64_e32 v[16:17], v[32:33]
	v_mov_b64_e32 v[90:91], v[42:43]
	s_nop 7
	s_nop 0
	scratch_store_dwordx4 off, v[72:75], off offset:3000 ; 16-byte Folded Spill
	s_nop 0
	scratch_store_dwordx4 off, v[76:79], off offset:3016 ; 16-byte Folded Spill
	scratch_store_dwordx4 off, v[80:83], off offset:3032 ; 16-byte Folded Spill
	;; [unrolled: 1-line block ×3, first 2 shown]
	v_mfma_f32_32x32x16_fp8_fp8 v[56:71], v[122:123], v[50:51], v[56:71]
	s_nop 7
	s_nop 2
	scratch_store_dwordx4 off, v[56:59], off offset:2936 ; 16-byte Folded Spill
	s_nop 0
	scratch_store_dwordx4 off, v[60:63], off offset:2952 ; 16-byte Folded Spill
	scratch_store_dwordx4 off, v[64:67], off offset:2968 ; 16-byte Folded Spill
	;; [unrolled: 1-line block ×3, first 2 shown]
	v_mov_b64_e32 v[18:19], v[34:35]
	v_mov_b64_e32 v[88:89], v[40:41]
	;; [unrolled: 1-line block ×3, first 2 shown]
	scratch_load_dwordx4 v[28:31], off, off offset:2032 ; 16-byte Folded Reload
	scratch_load_dwordx4 v[32:35], off, off offset:2048 ; 16-byte Folded Reload
	;; [unrolled: 1-line block ×4, first 2 shown]
	s_waitcnt vmcnt(24)
	v_mfma_f32_32x32x16_fp8_fp8 v[0:15], v[120:121], v[124:125], v[0:15]
	v_mov_b64_e32 v[72:73], v[88:89]
	v_mov_b64_e32 v[74:75], v[90:91]
	s_waitcnt vmcnt(0)
	v_mfma_f32_32x32x16_fp8_fp8 v[28:43], v[122:123], v[46:47], v[28:43]
	s_nop 7
	s_nop 2
	scratch_store_dwordx4 off, v[28:31], off offset:2032 ; 16-byte Folded Spill
	s_nop 0
	scratch_store_dwordx4 off, v[32:35], off offset:2048 ; 16-byte Folded Spill
	scratch_store_dwordx4 off, v[36:39], off offset:2064 ; 16-byte Folded Spill
	scratch_store_dwordx4 off, v[40:43], off offset:2080 ; 16-byte Folded Spill
	v_mfma_f32_32x32x16_fp8_fp8 v[0:15], v[122:123], v[126:127], v[0:15]
	s_nop 7
	s_nop 2
	scratch_store_dwordx4 off, v[0:3], off offset:2872 ; 16-byte Folded Spill
	s_nop 0
	scratch_store_dwordx4 off, v[4:7], off offset:2888 ; 16-byte Folded Spill
	scratch_store_dwordx4 off, v[8:11], off offset:2904 ; 16-byte Folded Spill
	;; [unrolled: 1-line block ×3, first 2 shown]
	v_mov_b64_e32 v[42:43], v[18:19]
	scratch_load_dwordx4 v[20:23], off, off offset:2808 ; 16-byte Folded Reload
	scratch_load_dwordx4 v[24:27], off, off offset:2824 ; 16-byte Folded Reload
	;; [unrolled: 1-line block ×10, first 2 shown]
	v_mov_b64_e32 v[40:41], v[16:17]
	scratch_load_dwordx4 v[4:7], off, off offset:2296 ; 16-byte Folded Reload
	scratch_load_dwordx4 v[8:11], off, off offset:2312 ; 16-byte Folded Reload
	scratch_load_dwordx4 v[12:15], off, off offset:2328 ; 16-byte Folded Reload
	scratch_load_dwordx4 v[16:19], off, off offset:2344 ; 16-byte Folded Reload
	s_waitcnt vmcnt(0)
	v_mfma_f32_32x32x16_fp8_fp8 v[4:19], v[0:1], v[52:53], v[4:19]
	s_nop 7
	s_nop 2
	v_mov_b64_e32 v[122:123], v[18:19]
	v_mov_b64_e32 v[120:121], v[16:17]
	v_mov_b64_e32 v[118:119], v[14:15]
	v_mov_b64_e32 v[116:117], v[12:13]
	v_mov_b64_e32 v[114:115], v[10:11]
	v_mov_b64_e32 v[112:113], v[8:9]
	v_mov_b64_e32 v[110:111], v[6:7]
	v_mov_b64_e32 v[108:109], v[4:5]
	scratch_load_dwordx4 v[4:7], off, off offset:2232 ; 16-byte Folded Reload
	scratch_load_dwordx4 v[8:11], off, off offset:2248 ; 16-byte Folded Reload
	scratch_load_dwordx4 v[12:15], off, off offset:2264 ; 16-byte Folded Reload
	scratch_load_dwordx4 v[16:19], off, off offset:2280 ; 16-byte Folded Reload
	s_waitcnt vmcnt(0)
	v_mfma_f32_32x32x16_fp8_fp8 v[4:19], v[0:1], v[72:73], v[4:19]
	s_nop 7
	s_nop 2
	v_mov_b64_e32 v[106:107], v[18:19]
	v_mov_b64_e32 v[104:105], v[16:17]
	v_mov_b64_e32 v[102:103], v[14:15]
	v_mov_b64_e32 v[100:101], v[12:13]
	v_mov_b64_e32 v[98:99], v[10:11]
	v_mov_b64_e32 v[96:97], v[8:9]
	v_mov_b64_e32 v[94:95], v[6:7]
	;; [unrolled: 16-line block ×3, first 2 shown]
	v_mov_b64_e32 v[76:77], v[4:5]
	scratch_load_dwordx4 v[4:7], off, off offset:1904 ; 16-byte Folded Reload
	scratch_load_dwordx4 v[8:11], off, off offset:1920 ; 16-byte Folded Reload
	;; [unrolled: 1-line block ×4, first 2 shown]
	v_mfma_f32_32x32x16_fp8_fp8 v[20:35], v[0:1], v[36:37], v[20:35]
	v_mfma_f32_32x32x16_fp8_fp8 v[56:71], v[0:1], v[40:41], v[56:71]
	s_waitcnt vmcnt(0)
	v_mfma_f32_32x32x16_fp8_fp8 v[4:19], v[0:1], v[44:45], v[4:19]
	s_nop 7
	s_nop 2
	scratch_store_dwordx4 off, v[4:7], off offset:1904 ; 16-byte Folded Spill
	s_nop 0
	scratch_store_dwordx4 off, v[8:11], off offset:1920 ; 16-byte Folded Spill
	scratch_store_dwordx4 off, v[12:15], off offset:1936 ; 16-byte Folded Spill
	;; [unrolled: 1-line block ×3, first 2 shown]
	v_mfma_f32_32x32x16_fp8_fp8 v[20:35], v[2:3], v[38:39], v[20:35]
	scratch_load_dwordx4 v[4:7], off, off offset:2104 ; 16-byte Folded Reload
	scratch_load_dwordx4 v[8:11], off, off offset:2120 ; 16-byte Folded Reload
	;; [unrolled: 1-line block ×4, first 2 shown]
	s_nop 6
	scratch_store_dwordx4 off, v[20:23], off offset:2808 ; 16-byte Folded Spill
	s_nop 0
	scratch_store_dwordx4 off, v[24:27], off offset:2824 ; 16-byte Folded Spill
	scratch_store_dwordx4 off, v[28:31], off offset:2840 ; 16-byte Folded Spill
	;; [unrolled: 1-line block ×3, first 2 shown]
	v_mfma_f32_32x32x16_fp8_fp8 v[56:71], v[2:3], v[42:43], v[56:71]
	s_nop 7
	s_nop 2
	scratch_store_dwordx4 off, v[56:59], off offset:2360 ; 16-byte Folded Spill
	s_nop 0
	scratch_store_dwordx4 off, v[60:63], off offset:2376 ; 16-byte Folded Spill
	scratch_store_dwordx4 off, v[64:67], off offset:2392 ; 16-byte Folded Spill
	scratch_store_dwordx4 off, v[68:71], off offset:2408 ; 16-byte Folded Spill
	v_mfma_f32_32x32x16_fp8_fp8 v[108:123], v[2:3], v[54:55], v[108:123]
	v_mov_b64_e32 v[32:33], v[40:41]
	s_nop 7
	s_nop 1
	scratch_store_dwordx4 off, v[108:111], off offset:2296 ; 16-byte Folded Spill
	s_nop 0
	scratch_store_dwordx4 off, v[112:115], off offset:2312 ; 16-byte Folded Spill
	scratch_store_dwordx4 off, v[116:119], off offset:2328 ; 16-byte Folded Spill
	scratch_store_dwordx4 off, v[120:123], off offset:2344 ; 16-byte Folded Spill
	v_mfma_f32_32x32x16_fp8_fp8 v[92:107], v[2:3], v[74:75], v[92:107]
	v_mov_b64_e32 v[28:29], v[52:53]
	;; [unrolled: 9-line block ×3, first 2 shown]
	s_nop 7
	s_nop 1
	scratch_store_dwordx4 off, v[76:79], off offset:2168 ; 16-byte Folded Spill
	s_nop 0
	scratch_store_dwordx4 off, v[80:83], off offset:2184 ; 16-byte Folded Spill
	scratch_store_dwordx4 off, v[84:87], off offset:2200 ; 16-byte Folded Spill
	;; [unrolled: 1-line block ×3, first 2 shown]
	v_mov_b64_e32 v[34:35], v[42:43]
	v_mov_b64_e32 v[30:31], v[54:55]
	;; [unrolled: 1-line block ×3, first 2 shown]
	scratch_load_dwordx4 v[40:43], off, off offset:1904 ; 16-byte Folded Reload
	scratch_load_dwordx4 v[44:47], off, off offset:1920 ; 16-byte Folded Reload
	;; [unrolled: 1-line block ×5, first 2 shown]
	s_waitcnt vmcnt(25)
	v_mfma_f32_32x32x16_fp8_fp8 v[4:19], v[0:1], v[124:125], v[4:19]
	v_mov_b64_e32 v[56:57], v[72:73]
	v_mov_b64_e32 v[58:59], v[74:75]
	s_waitcnt vmcnt(0)
	v_mfma_f32_32x32x16_fp8_fp8 v[40:55], v[2:3], v[22:23], v[40:55]
	s_nop 7
	s_nop 2
	scratch_store_dwordx4 off, v[40:43], off offset:1904 ; 16-byte Folded Spill
	s_nop 0
	scratch_store_dwordx4 off, v[44:47], off offset:1920 ; 16-byte Folded Spill
	scratch_store_dwordx4 off, v[48:51], off offset:1936 ; 16-byte Folded Spill
	;; [unrolled: 1-line block ×3, first 2 shown]
	v_mfma_f32_32x32x16_fp8_fp8 v[4:19], v[2:3], v[126:127], v[4:19]
	s_nop 7
	s_nop 2
	scratch_store_dwordx4 off, v[4:7], off offset:2104 ; 16-byte Folded Spill
	s_nop 0
	scratch_store_dwordx4 off, v[8:11], off offset:2120 ; 16-byte Folded Spill
	scratch_store_dwordx4 off, v[12:15], off offset:2136 ; 16-byte Folded Spill
	;; [unrolled: 1-line block ×3, first 2 shown]
	scratch_load_dwordx4 v[0:3], off, off offset:3576 ; 16-byte Folded Reload
	s_nop 0
	scratch_load_dwordx4 v[4:7], off, off offset:3592 ; 16-byte Folded Reload
	scratch_load_dwordx4 v[8:11], off, off offset:3608 ; 16-byte Folded Reload
	;; [unrolled: 1-line block ×8, first 2 shown]
	s_waitcnt vmcnt(4)
	v_mfma_f32_32x32x16_fp8_fp8 v[0:15], v[48:49], v[36:37], v[0:15]
	scratch_load_dwordx4 v[80:83], off, off offset:3448 ; 16-byte Folded Reload
	scratch_load_dwordx4 v[84:87], off, off offset:3464 ; 16-byte Folded Reload
	;; [unrolled: 1-line block ×8, first 2 shown]
	v_mov_b64_e32 v[52:53], v[124:125]
	v_mov_b64_e32 v[54:55], v[126:127]
	;; [unrolled: 1-line block ×4, first 2 shown]
	s_waitcnt vmcnt(8)
	v_mfma_f32_32x32x16_fp8_fp8 v[96:111], v[48:49], v[32:33], v[96:111]
	v_mfma_f32_32x32x16_fp8_fp8 v[0:15], v[50:51], v[38:39], v[0:15]
	;; [unrolled: 1-line block ×3, first 2 shown]
	scratch_load_dwordx4 v[32:35], off, off offset:3320 ; 16-byte Folded Reload
	scratch_load_dwordx4 v[36:39], off, off offset:3336 ; 16-byte Folded Reload
	;; [unrolled: 1-line block ×8, first 2 shown]
	s_waitcnt vmcnt(12)
	v_mfma_f32_32x32x16_fp8_fp8 v[80:95], v[48:49], v[28:29], v[80:95]
	s_waitcnt vmcnt(4)
	v_mfma_f32_32x32x16_fp8_fp8 v[32:47], v[48:49], v[16:17], v[32:47]
	v_mfma_f32_32x32x16_fp8_fp8 v[80:95], v[50:51], v[30:31], v[80:95]
	v_mov_b64_e32 v[28:29], v[56:57]
	v_mov_b64_e32 v[30:31], v[58:59]
	v_mfma_f32_32x32x16_fp8_fp8 v[32:47], v[50:51], v[18:19], v[32:47]
	v_mov_b64_e32 v[16:17], v[20:21]
	v_mov_b64_e32 v[18:19], v[22:23]
	v_mfma_f32_32x32x16_fp8_fp8 v[64:79], v[48:49], v[28:29], v[64:79]
	s_waitcnt vmcnt(0)
	v_mfma_f32_32x32x16_fp8_fp8 v[112:127], v[48:49], v[16:17], v[112:127]
	v_mfma_f32_32x32x16_fp8_fp8 v[64:79], v[50:51], v[30:31], v[64:79]
	;; [unrolled: 1-line block ×3, first 2 shown]
	scratch_load_dwordx4 v[16:19], off, off offset:3640 ; 16-byte Folded Reload
	scratch_load_dwordx4 v[20:23], off, off offset:3656 ; 16-byte Folded Reload
	;; [unrolled: 1-line block ×4, first 2 shown]
	s_waitcnt vmcnt(0)
	v_mfma_f32_32x32x16_fp8_fp8 v[16:31], v[48:49], v[52:53], v[16:31]
	v_mfma_f32_32x32x16_fp8_fp8 v[16:31], v[50:51], v[54:55], v[16:31]
	scratch_load_dwordx4 v[48:51], off, off offset:2744 ; 16-byte Folded Reload
	scratch_load_dwordx4 v[52:55], off, off offset:2760 ; 16-byte Folded Reload
	;; [unrolled: 1-line block ×4, first 2 shown]
	s_waitcnt vmcnt(0)
	scratch_store_dwordx4 off, v[60:63], off offset:48
	scratch_store_dwordx4 off, v[56:59], off offset:32
	;; [unrolled: 1-line block ×3, first 2 shown]
	scratch_store_dwordx4 off, v[48:51], off
	scratch_load_dwordx4 v[48:51], off, off offset:2680 ; 16-byte Folded Reload
	s_nop 0
	scratch_load_dwordx4 v[52:55], off, off offset:2696 ; 16-byte Folded Reload
	scratch_load_dwordx4 v[56:59], off, off offset:2712 ; 16-byte Folded Reload
	scratch_load_dwordx4 v[60:63], off, off offset:2728 ; 16-byte Folded Reload
	s_waitcnt vmcnt(0)
	scratch_store_dwordx4 off, v[60:63], off offset:112
	scratch_store_dwordx4 off, v[56:59], off offset:96
	scratch_store_dwordx4 off, v[52:55], off offset:80
	scratch_store_dwordx4 off, v[48:51], off offset:64
	scratch_load_dwordx4 v[48:51], off, off offset:2616 ; 16-byte Folded Reload
	s_nop 0
	scratch_load_dwordx4 v[52:55], off, off offset:2632 ; 16-byte Folded Reload
	scratch_load_dwordx4 v[56:59], off, off offset:2648 ; 16-byte Folded Reload
	scratch_load_dwordx4 v[60:63], off, off offset:2664 ; 16-byte Folded Reload
	s_waitcnt vmcnt(0)
	scratch_store_dwordx4 off, v[60:63], off offset:176
	scratch_store_dwordx4 off, v[56:59], off offset:160
	scratch_store_dwordx4 off, v[52:55], off offset:144
	scratch_store_dwordx4 off, v[48:51], off offset:128
	;; [unrolled: 10-line block ×20, first 2 shown]
	scratch_store_dwordx4 off, v[12:15], off offset:1392
	scratch_store_dwordx4 off, v[8:11], off offset:1376
	scratch_store_dwordx4 off, v[4:7], off offset:1360
	scratch_store_dwordx4 off, v[0:3], off offset:3576 ; 16-byte Folded Spill
	s_nop 0
	scratch_store_dwordx4 off, v[4:7], off offset:3592 ; 16-byte Folded Spill
	scratch_store_dwordx4 off, v[8:11], off offset:3608 ; 16-byte Folded Spill
	scratch_store_dwordx4 off, v[12:15], off offset:3624 ; 16-byte Folded Spill
	scratch_store_dwordx4 off, v[0:3], off offset:1344
	scratch_store_dwordx4 off, v[108:111], off offset:1456
	scratch_store_dwordx4 off, v[104:107], off offset:1440
	scratch_store_dwordx4 off, v[100:103], off offset:1424
	scratch_store_dwordx4 off, v[96:99], off offset:3512 ; 16-byte Folded Spill
	s_nop 0
	scratch_store_dwordx4 off, v[100:103], off offset:3528 ; 16-byte Folded Spill
	scratch_store_dwordx4 off, v[104:107], off offset:3544 ; 16-byte Folded Spill
	scratch_store_dwordx4 off, v[108:111], off offset:3560 ; 16-byte Folded Spill
	scratch_store_dwordx4 off, v[96:99], off offset:1408
	;; [unrolled: 9-line block ×5, first 2 shown]
	scratch_store_dwordx4 off, v[124:127], off offset:1712
	scratch_store_dwordx4 off, v[120:123], off offset:1696
	;; [unrolled: 1-line block ×7, first 2 shown]
	scratch_store_dwordx4 off, v[16:19], off offset:3640 ; 16-byte Folded Spill
	s_nop 0
	scratch_store_dwordx4 off, v[20:23], off offset:3656 ; 16-byte Folded Spill
	scratch_store_dwordx4 off, v[24:27], off offset:3672 ; 16-byte Folded Spill
	;; [unrolled: 1-line block ×3, first 2 shown]
	scratch_store_dwordx4 off, v[16:19], off offset:1728
.LBB47_10:                              ;   in Loop: Header=BB47_11 Depth=2
	s_or_b64 exec, exec, s[2:3]
	scratch_load_dwordx2 v[18:19], off, off offset:2096 ; 8-byte Folded Reload
	s_addk_i32 s42, 0x400
	s_cmp_ge_u32 s42, s20
	s_waitcnt vmcnt(0)
	v_add_u32_e32 v18, 0x400, v18
	s_cbranch_scc1 .LBB47_30
.LBB47_11:                              ;   Parent Loop BB47_7 Depth=1
                                        ; =>  This Loop Header: Depth=2
                                        ;       Child Loop BB47_13 Depth 3
	scratch_load_dwordx2 v[16:17], off, off offset:3704 ; 8-byte Folded Reload
	s_nop 0
	scratch_store_dwordx2 off, v[18:19], off offset:2096 ; 8-byte Folded Spill
	s_waitcnt vmcnt(1)
	v_add_u32_e32 v18, s42, v16
	v_cmp_gt_u32_e32 vcc, s20, v18
	s_and_saveexec_b64 s[2:3], vcc
	s_cbranch_execz .LBB47_10
; %bb.12:                               ;   in Loop: Header=BB47_11 Depth=2
	scratch_store_dwordx4 off, v[112:115], off offset:3712 ; 16-byte Folded Spill
	s_nop 0
	scratch_store_dwordx4 off, v[116:119], off offset:3728 ; 16-byte Folded Spill
	scratch_store_dwordx4 off, v[120:123], off offset:3744 ; 16-byte Folded Spill
	;; [unrolled: 1-line block ×3, first 2 shown]
	scratch_load_dwordx2 v[0:1], off, off offset:2096 ; 8-byte Folded Reload
	v_mov_b32_e32 v19, 0x700
	s_mov_b32 s5, 0
	s_mov_b64 s[6:7], 0
	s_waitcnt vmcnt(0) lgkmcnt(0)
	v_lshl_add_u64 v[16:17], s[26:27], 0, v[0:1]
	scratch_load_dwordx2 v[0:1], off, off offset:3840 ; 8-byte Folded Reload
.LBB47_13:                              ;   Parent Loop BB47_7 Depth=1
                                        ;     Parent Loop BB47_11 Depth=2
                                        ; =>    This Inner Loop Header: Depth=3
	global_load_dwordx4 v[20:23], v[16:17], off nt
	s_add_i32 s10, s5, 1
	s_cmp_gt_u32 s5, 5
	s_cselect_b64 s[8:9], -1, 0
	v_lshl_add_u64 v[16:17], v[16:17], 0, s[34:35]
	s_mov_b32 s5, s10
	s_waitcnt vmcnt(0)
	scratch_store_dwordx4 v19, v[20:23], off
	s_nop 1
	v_add_u32_e32 v20, s10, v0
	v_cmp_le_u32_e32 vcc, s22, v20
	s_or_b64 s[8:9], s[8:9], vcc
	s_and_b64 s[8:9], exec, s[8:9]
	v_add_u32_e32 v19, 16, v19
	s_or_b64 s[6:7], s[8:9], s[6:7]
	s_andn2_b64 exec, exec, s[6:7]
	s_cbranch_execnz .LBB47_13
; %bb.14:                               ;   in Loop: Header=BB47_11 Depth=2
	s_or_b64 exec, exec, s[6:7]
	v_cmp_lt_u32_e32 vcc, s21, v18
                                        ; implicit-def: $vgpr48_vgpr49
	s_and_saveexec_b64 s[6:7], vcc
	s_xor_b64 s[6:7], exec, s[6:7]
	s_cbranch_execz .LBB47_16
; %bb.15:                               ;   in Loop: Header=BB47_11 Depth=2
	global_load_dwordx4 v[48:51], v18, s[24:25]
.LBB47_16:                              ;   in Loop: Header=BB47_11 Depth=2
	s_andn2_saveexec_b64 s[6:7], s[6:7]
	s_cbranch_execz .LBB47_18
; %bb.17:                               ;   in Loop: Header=BB47_11 Depth=2
	s_waitcnt vmcnt(0)
	ds_read_b128 v[48:51], v18
.LBB47_18:                              ;   in Loop: Header=BB47_11 Depth=2
	s_or_b64 exec, exec, s[6:7]
	v_add_u32_e32 v16, s20, v18
	v_cmp_lt_u32_e32 vcc, s21, v16
                                        ; implicit-def: $vgpr0_vgpr1
	scratch_store_dwordx4 off, v[0:3], off offset:3288 ; 16-byte Folded Spill
	s_and_saveexec_b64 s[6:7], vcc
	s_xor_b64 s[6:7], exec, s[6:7]
	s_cbranch_execz .LBB47_20
; %bb.19:                               ;   in Loop: Header=BB47_11 Depth=2
	global_load_dwordx4 v[0:3], v16, s[24:25]
	s_waitcnt vmcnt(0)
	scratch_store_dwordx4 off, v[0:3], off offset:3288 ; 16-byte Folded Spill
.LBB47_20:                              ;   in Loop: Header=BB47_11 Depth=2
	s_andn2_saveexec_b64 s[6:7], s[6:7]
	s_cbranch_execz .LBB47_22
; %bb.21:                               ;   in Loop: Header=BB47_11 Depth=2
	ds_read_b128 v[0:3], v16
	s_waitcnt lgkmcnt(0)
	scratch_store_dwordx4 off, v[0:3], off offset:3288 ; 16-byte Folded Spill
.LBB47_22:                              ;   in Loop: Header=BB47_11 Depth=2
	s_or_b64 exec, exec, s[6:7]
	v_add_u32_e32 v16, s20, v16
	v_cmp_lt_u32_e32 vcc, s21, v16
                                        ; implicit-def: $vgpr0_vgpr1
	scratch_store_dwordx4 off, v[0:3], off offset:3272 ; 16-byte Folded Spill
	s_and_saveexec_b64 s[6:7], vcc
	s_xor_b64 s[6:7], exec, s[6:7]
	s_cbranch_execz .LBB47_24
; %bb.23:                               ;   in Loop: Header=BB47_11 Depth=2
	global_load_dwordx4 v[0:3], v16, s[24:25]
	s_waitcnt vmcnt(0)
	scratch_store_dwordx4 off, v[0:3], off offset:3272 ; 16-byte Folded Spill
.LBB47_24:                              ;   in Loop: Header=BB47_11 Depth=2
	s_andn2_saveexec_b64 s[6:7], s[6:7]
	s_cbranch_execz .LBB47_26
; %bb.25:                               ;   in Loop: Header=BB47_11 Depth=2
	ds_read_b128 v[0:3], v16
	s_waitcnt lgkmcnt(0)
	scratch_store_dwordx4 off, v[0:3], off offset:3272 ; 16-byte Folded Spill
.LBB47_26:                              ;   in Loop: Header=BB47_11 Depth=2
	s_or_b64 exec, exec, s[6:7]
	v_add_u32_e32 v16, s20, v16
	v_cmp_lt_u32_e32 vcc, s21, v16
                                        ; implicit-def: $vgpr0_vgpr1
	scratch_store_dwordx4 off, v[0:3], off offset:3256 ; 16-byte Folded Spill
	s_and_saveexec_b64 s[6:7], vcc
	s_xor_b64 s[6:7], exec, s[6:7]
	s_cbranch_execz .LBB47_28
; %bb.27:                               ;   in Loop: Header=BB47_11 Depth=2
	global_load_dwordx4 v[0:3], v16, s[24:25]
                                        ; implicit-def: $vgpr16
	s_waitcnt vmcnt(0)
	scratch_store_dwordx4 off, v[0:3], off offset:3256 ; 16-byte Folded Spill
.LBB47_28:                              ;   in Loop: Header=BB47_11 Depth=2
	s_andn2_saveexec_b64 s[6:7], s[6:7]
	s_cbranch_execz .LBB47_9
; %bb.29:                               ;   in Loop: Header=BB47_11 Depth=2
	ds_read_b128 v[0:3], v16
	s_waitcnt lgkmcnt(0)
	scratch_store_dwordx4 off, v[0:3], off offset:3256 ; 16-byte Folded Spill
	s_branch .LBB47_9
.LBB47_30:                              ;   in Loop: Header=BB47_7 Depth=1
	scratch_load_dword v20, off, off offset:3872 ; 4-byte Folded Reload
	v_mov_b32_e32 v21, v19
	s_mov_b32 s2, 0
.LBB47_31:                              ;   Parent Loop BB47_7 Depth=1
                                        ; =>  This Inner Loop Header: Depth=2
	s_add_i32 s3, s2, 0
	scratch_load_dwordx4 v[0:3], off, s3 offset:48
	scratch_load_dwordx4 v[4:7], off, s3 offset:32
	scratch_load_dwordx4 v[8:11], off, s3
	scratch_load_dwordx4 v[12:15], off, s3 offset:16
	s_add_i32 s2, s2, 64
	s_cmpk_lg_i32 s2, 0x1c0
	s_waitcnt vmcnt(2)
	;;#ASMSTART
	v_add_f32 v4, v5, v4 row_shl:1 bound_ctrl:0 
	;;#ASMEND
	s_nop 0
	;;#ASMSTART
	v_add_f32 v4, v6, v4 row_shl:2 bound_ctrl:0 
	;;#ASMEND
	s_waitcnt vmcnt(1)
	;;#ASMSTART
	v_add_f32 v8, v9, v8 row_shl:1 bound_ctrl:0 
	;;#ASMEND
	;;#ASMSTART
	v_add_f32 v4, v7, v4 row_shl:3 bound_ctrl:0 
	;;#ASMEND
	s_nop 0
	;;#ASMSTART
	v_add_f32 v8, v10, v8 row_shl:2 bound_ctrl:0 
	;;#ASMEND
	;;#ASMSTART
	v_add_f32 v4, v0, v4 row_shl:8 bound_ctrl:0 
	;;#ASMEND
	s_nop 0
	;;#ASMSTART
	v_add_f32 v8, v11, v8 row_shl:3 bound_ctrl:0 
	;;#ASMEND
	;;#ASMSTART
	v_add_f32 v4, v1, v4 row_shl:9 bound_ctrl:0 
	;;#ASMEND
	s_waitcnt vmcnt(0)
	;;#ASMSTART
	v_add_f32 v8, v12, v8 row_shl:8 bound_ctrl:0 
	;;#ASMEND
	;;#ASMSTART
	v_add_f32 v4, v2, v4 row_shl:10 bound_ctrl:0 
	;;#ASMEND
	s_nop 0
	;;#ASMSTART
	v_add_f32 v8, v13, v8 row_shl:9 bound_ctrl:0 
	;;#ASMEND
	;;#ASMSTART
	v_add_f32 v4, v3, v4 row_shl:11 bound_ctrl:0 
	;;#ASMEND
	ds_bpermute_b32 v0, v20, v4 offset:208
	;;#ASMSTART
	v_add_f32 v8, v14, v8 row_shl:10 bound_ctrl:0 
	;;#ASMEND
	s_waitcnt lgkmcnt(0)
	v_add_f32_e32 v0, v4, v0
	;;#ASMSTART
	v_add_f32 v8, v15, v8 row_shl:11 bound_ctrl:0 
	;;#ASMEND
	ds_bpermute_b32 v1, v20, v8 offset:144
	ds_bpermute_b32 v0, v20, v0 offset:64
	s_waitcnt lgkmcnt(1)
	v_add_f32_e32 v1, v8, v1
	s_waitcnt lgkmcnt(0)
	v_add_f32_e32 v0, v1, v0
	scratch_store_dword off, v0, s3
	s_cbranch_scc1 .LBB47_31
; %bb.32:                               ;   in Loop: Header=BB47_7 Depth=1
	v_or_b32_e32 v0, 0x90, v20
	v_or_b32_e32 v1, 0xd0, v20
	;; [unrolled: 1-line block ×3, first 2 shown]
	s_movk_i32 s2, 0x1c0
.LBB47_33:                              ;   Parent Loop BB47_7 Depth=1
                                        ; =>  This Inner Loop Header: Depth=2
	s_add_i32 s3, s2, 0
	scratch_load_dwordx4 v[4:7], off, s3 offset:48
	scratch_load_dwordx4 v[8:11], off, s3 offset:32
	scratch_load_dwordx4 v[12:15], off, s3
	scratch_load_dwordx4 v[16:19], off, s3 offset:16
	s_add_i32 s2, s2, 64
	s_cmpk_lg_i32 s2, 0x380
	s_waitcnt vmcnt(2)
	;;#ASMSTART
	v_add_f32 v8, v9, v8 row_shl:1 bound_ctrl:0 
	;;#ASMEND
	s_nop 0
	;;#ASMSTART
	v_add_f32 v8, v10, v8 row_shl:2 bound_ctrl:0 
	;;#ASMEND
	s_waitcnt vmcnt(1)
	;;#ASMSTART
	v_add_f32 v12, v13, v12 row_shl:1 bound_ctrl:0 
	;;#ASMEND
	;;#ASMSTART
	v_add_f32 v8, v11, v8 row_shl:3 bound_ctrl:0 
	;;#ASMEND
	s_nop 0
	;;#ASMSTART
	v_add_f32 v12, v14, v12 row_shl:2 bound_ctrl:0 
	;;#ASMEND
	;;#ASMSTART
	v_add_f32 v8, v4, v8 row_shl:8 bound_ctrl:0 
	;;#ASMEND
	s_nop 0
	;;#ASMSTART
	v_add_f32 v12, v15, v12 row_shl:3 bound_ctrl:0 
	;;#ASMEND
	;;#ASMSTART
	v_add_f32 v8, v5, v8 row_shl:9 bound_ctrl:0 
	;;#ASMEND
	s_waitcnt vmcnt(0)
	;;#ASMSTART
	v_add_f32 v12, v16, v12 row_shl:8 bound_ctrl:0 
	;;#ASMEND
	;;#ASMSTART
	v_add_f32 v8, v6, v8 row_shl:10 bound_ctrl:0 
	;;#ASMEND
	s_nop 0
	;;#ASMSTART
	v_add_f32 v12, v17, v12 row_shl:9 bound_ctrl:0 
	;;#ASMEND
	;;#ASMSTART
	v_add_f32 v8, v7, v8 row_shl:11 bound_ctrl:0 
	;;#ASMEND
	ds_bpermute_b32 v3, v1, v8
	;;#ASMSTART
	v_add_f32 v12, v18, v12 row_shl:10 bound_ctrl:0 
	;;#ASMEND
	s_waitcnt lgkmcnt(0)
	v_add_f32_e32 v3, v8, v3
	;;#ASMSTART
	v_add_f32 v12, v19, v12 row_shl:11 bound_ctrl:0 
	;;#ASMEND
	ds_bpermute_b32 v4, v0, v12
	ds_bpermute_b32 v3, v2, v3
	s_waitcnt lgkmcnt(1)
	v_add_f32_e32 v4, v12, v4
	s_waitcnt lgkmcnt(0)
	v_add_f32_e32 v3, v4, v3
	scratch_store_dword off, v3, s3
	s_cbranch_scc1 .LBB47_33
; %bb.34:                               ;   in Loop: Header=BB47_7 Depth=1
	s_movk_i32 s2, 0x380
.LBB47_35:                              ;   Parent Loop BB47_7 Depth=1
                                        ; =>  This Inner Loop Header: Depth=2
	s_add_i32 s3, s2, 0
	scratch_load_dwordx4 v[4:7], off, s3 offset:48
	scratch_load_dwordx4 v[8:11], off, s3 offset:32
	scratch_load_dwordx4 v[12:15], off, s3
	scratch_load_dwordx4 v[16:19], off, s3 offset:16
	s_add_i32 s2, s2, 64
	s_cmpk_lg_i32 s2, 0x540
	s_waitcnt vmcnt(2)
	;;#ASMSTART
	v_add_f32 v8, v9, v8 row_shl:1 bound_ctrl:0 
	;;#ASMEND
	s_nop 0
	;;#ASMSTART
	v_add_f32 v8, v10, v8 row_shl:2 bound_ctrl:0 
	;;#ASMEND
	s_waitcnt vmcnt(1)
	;;#ASMSTART
	v_add_f32 v12, v13, v12 row_shl:1 bound_ctrl:0 
	;;#ASMEND
	;;#ASMSTART
	v_add_f32 v8, v11, v8 row_shl:3 bound_ctrl:0 
	;;#ASMEND
	s_nop 0
	;;#ASMSTART
	v_add_f32 v12, v14, v12 row_shl:2 bound_ctrl:0 
	;;#ASMEND
	;;#ASMSTART
	v_add_f32 v8, v4, v8 row_shl:8 bound_ctrl:0 
	;;#ASMEND
	s_nop 0
	;;#ASMSTART
	v_add_f32 v12, v15, v12 row_shl:3 bound_ctrl:0 
	;;#ASMEND
	;;#ASMSTART
	v_add_f32 v8, v5, v8 row_shl:9 bound_ctrl:0 
	;;#ASMEND
	s_waitcnt vmcnt(0)
	;;#ASMSTART
	v_add_f32 v12, v16, v12 row_shl:8 bound_ctrl:0 
	;;#ASMEND
	;;#ASMSTART
	v_add_f32 v8, v6, v8 row_shl:10 bound_ctrl:0 
	;;#ASMEND
	s_nop 0
	;;#ASMSTART
	v_add_f32 v12, v17, v12 row_shl:9 bound_ctrl:0 
	;;#ASMEND
	;;#ASMSTART
	v_add_f32 v8, v7, v8 row_shl:11 bound_ctrl:0 
	;;#ASMEND
	ds_bpermute_b32 v3, v1, v8
	;;#ASMSTART
	v_add_f32 v12, v18, v12 row_shl:10 bound_ctrl:0 
	;;#ASMEND
	s_waitcnt lgkmcnt(0)
	v_add_f32_e32 v3, v8, v3
	;;#ASMSTART
	v_add_f32 v12, v19, v12 row_shl:11 bound_ctrl:0 
	;;#ASMEND
	ds_bpermute_b32 v4, v0, v12
	ds_bpermute_b32 v3, v2, v3
	s_waitcnt lgkmcnt(1)
	v_add_f32_e32 v4, v12, v4
	s_waitcnt lgkmcnt(0)
	v_add_f32_e32 v3, v4, v3
	scratch_store_dword off, v3, s3
	s_cbranch_scc1 .LBB47_35
; %bb.36:                               ;   in Loop: Header=BB47_7 Depth=1
	s_movk_i32 s2, 0x540
.LBB47_37:                              ;   Parent Loop BB47_7 Depth=1
                                        ; =>  This Inner Loop Header: Depth=2
	s_add_i32 s3, s2, 0
	scratch_load_dwordx4 v[4:7], off, s3 offset:48
	scratch_load_dwordx4 v[8:11], off, s3 offset:32
	scratch_load_dwordx4 v[12:15], off, s3
	scratch_load_dwordx4 v[16:19], off, s3 offset:16
	s_add_i32 s2, s2, 64
	s_cmpk_lg_i32 s2, 0x700
	s_waitcnt vmcnt(2)
	;;#ASMSTART
	v_add_f32 v8, v9, v8 row_shl:1 bound_ctrl:0 
	;;#ASMEND
	s_nop 0
	;;#ASMSTART
	v_add_f32 v8, v10, v8 row_shl:2 bound_ctrl:0 
	;;#ASMEND
	s_waitcnt vmcnt(1)
	;;#ASMSTART
	v_add_f32 v12, v13, v12 row_shl:1 bound_ctrl:0 
	;;#ASMEND
	;;#ASMSTART
	v_add_f32 v8, v11, v8 row_shl:3 bound_ctrl:0 
	;;#ASMEND
	s_nop 0
	;;#ASMSTART
	v_add_f32 v12, v14, v12 row_shl:2 bound_ctrl:0 
	;;#ASMEND
	;;#ASMSTART
	v_add_f32 v8, v4, v8 row_shl:8 bound_ctrl:0 
	;;#ASMEND
	s_nop 0
	;;#ASMSTART
	v_add_f32 v12, v15, v12 row_shl:3 bound_ctrl:0 
	;;#ASMEND
	;;#ASMSTART
	v_add_f32 v8, v5, v8 row_shl:9 bound_ctrl:0 
	;;#ASMEND
	s_waitcnt vmcnt(0)
	;;#ASMSTART
	v_add_f32 v12, v16, v12 row_shl:8 bound_ctrl:0 
	;;#ASMEND
	;;#ASMSTART
	v_add_f32 v8, v6, v8 row_shl:10 bound_ctrl:0 
	;;#ASMEND
	s_nop 0
	;;#ASMSTART
	v_add_f32 v12, v17, v12 row_shl:9 bound_ctrl:0 
	;;#ASMEND
	;;#ASMSTART
	v_add_f32 v8, v7, v8 row_shl:11 bound_ctrl:0 
	;;#ASMEND
	ds_bpermute_b32 v3, v1, v8
	;;#ASMSTART
	v_add_f32 v12, v18, v12 row_shl:10 bound_ctrl:0 
	;;#ASMEND
	s_waitcnt lgkmcnt(0)
	v_add_f32_e32 v3, v8, v3
	;;#ASMSTART
	v_add_f32 v12, v19, v12 row_shl:11 bound_ctrl:0 
	;;#ASMEND
	ds_bpermute_b32 v4, v0, v12
	ds_bpermute_b32 v3, v2, v3
	s_waitcnt lgkmcnt(1)
	v_add_f32_e32 v4, v12, v4
	s_waitcnt lgkmcnt(0)
	v_add_f32_e32 v3, v4, v3
	scratch_store_dword off, v3, s3
	s_cbranch_scc1 .LBB47_37
; %bb.38:                               ;   in Loop: Header=BB47_7 Depth=1
	s_mov_b64 s[6:7], exec
	scratch_load_dwordx2 v[10:11], off, off offset:3840 ; 8-byte Folded Reload
	s_and_b64 s[2:3], s[6:7], s[0:1]
	v_mov_b32_e32 v19, v21
	s_mov_b64 exec, s[2:3]
	s_cbranch_execz .LBB47_6
; %bb.39:                               ;   in Loop: Header=BB47_7 Depth=1
	scratch_load_dwordx4 v[4:7], off, off
	s_waitcnt vmcnt(1)
	v_mov_b32_e32 v11, v19
	v_add_u32_e32 v2, 1, v10
	v_lshl_add_u64 v[0:1], v[10:11], 1, s[28:29]
	v_cmp_gt_u32_e32 vcc, s22, v2
	s_waitcnt vmcnt(0)
	v_mul_f32_e32 v3, s23, v4
	v_fma_mixlo_f16 v3, s33, v3, 0
	global_store_short v[0:1], v3, off
	s_and_saveexec_b64 s[8:9], vcc
	s_cbranch_execz .LBB47_46
; %bb.40:                               ;   in Loop: Header=BB47_7 Depth=1
	scratch_load_dwordx4 v[4:7], off, off offset:64
	v_add_u32_e32 v3, 2, v10
	v_cmp_gt_u32_e64 s[2:3], s22, v3
	s_waitcnt vmcnt(0)
	v_mul_f32_e32 v4, s23, v4
	v_fma_mixlo_f16 v4, s33, v4, 0
	global_store_short v[0:1], v4, off offset:2
	s_and_b64 exec, exec, s[2:3]
	s_cbranch_execz .LBB47_46
; %bb.41:                               ;   in Loop: Header=BB47_7 Depth=1
	scratch_load_dwordx4 v[4:7], off, off offset:128
	v_add_u32_e32 v3, 3, v10
	v_cmp_gt_u32_e64 s[2:3], s22, v3
	s_waitcnt vmcnt(0)
	v_mul_f32_e32 v4, s23, v4
	v_fma_mixlo_f16 v4, s33, v4, 0
	global_store_short v[0:1], v4, off offset:4
	s_and_b64 exec, exec, s[2:3]
	;; [unrolled: 10-line block ×5, first 2 shown]
	s_cbranch_execz .LBB47_46
; %bb.45:                               ;   in Loop: Header=BB47_7 Depth=1
	scratch_load_dwordx4 v[4:7], off, off offset:384
	s_waitcnt vmcnt(0)
	v_mul_f32_e32 v3, s23, v4
	v_fma_mixlo_f16 v3, s33, v3, 0
	global_store_short v[0:1], v3, off offset:12
.LBB47_46:                              ;   in Loop: Header=BB47_7 Depth=1
	s_or_b64 exec, exec, s[8:9]
	scratch_load_dwordx4 v[4:7], off, off offset:448
	v_add_u32_e32 v18, s22, v10
	s_waitcnt vmcnt(0)
	v_mul_f32_e32 v0, s23, v4
	v_fma_mixlo_f16 v3, s33, v0, 0
	v_lshl_add_u64 v[0:1], v[18:19], 1, s[28:29]
	global_store_short v[0:1], v3, off
	s_and_saveexec_b64 s[8:9], vcc
	s_cbranch_execz .LBB47_53
; %bb.47:                               ;   in Loop: Header=BB47_7 Depth=1
	scratch_load_dwordx4 v[4:7], off, off offset:512
	s_waitcnt vmcnt(0)
	v_add_u32_e32 v6, s22, v2
	v_mov_b32_e32 v7, v19
	v_add_u32_e32 v0, 2, v10
	v_lshl_add_u64 v[6:7], v[6:7], 1, s[28:29]
	v_cmp_gt_u32_e64 s[2:3], s22, v0
	v_mul_f32_e32 v1, s23, v4
	v_fma_mixlo_f16 v1, s33, v1, 0
	global_store_short v[6:7], v1, off
	s_and_b64 exec, exec, s[2:3]
	s_cbranch_execz .LBB47_53
; %bb.48:                               ;   in Loop: Header=BB47_7 Depth=1
	scratch_load_dwordx4 v[4:7], off, off offset:576
	s_waitcnt vmcnt(0)
	v_add_u32_e32 v6, s22, v0
	v_mov_b32_e32 v7, v19
	v_add_u32_e32 v0, 3, v10
	v_lshl_add_u64 v[6:7], v[6:7], 1, s[28:29]
	v_cmp_gt_u32_e64 s[2:3], s22, v0
	v_mul_f32_e32 v1, s23, v4
	v_fma_mixlo_f16 v1, s33, v1, 0
	global_store_short v[6:7], v1, off
	s_and_b64 exec, exec, s[2:3]
	;; [unrolled: 13-line block ×5, first 2 shown]
	s_cbranch_execz .LBB47_53
; %bb.52:                               ;   in Loop: Header=BB47_7 Depth=1
	scratch_load_dwordx4 v[4:7], off, off offset:832
	v_add_u32_e32 v0, s22, v0
	v_mov_b32_e32 v1, v19
	v_lshl_add_u64 v[0:1], v[0:1], 1, s[28:29]
	s_waitcnt vmcnt(0)
	v_mul_f32_e32 v3, s23, v4
	v_fma_mixlo_f16 v3, s33, v3, 0
	global_store_short v[0:1], v3, off
.LBB47_53:                              ;   in Loop: Header=BB47_7 Depth=1
	s_or_b64 exec, exec, s[8:9]
	scratch_load_dwordx4 v[4:7], off, off offset:896
	v_add_u32_e32 v18, s22, v18
	s_waitcnt vmcnt(0)
	v_mul_f32_e32 v0, s23, v4
	v_fma_mixlo_f16 v3, s33, v0, 0
	v_lshl_add_u64 v[0:1], v[18:19], 1, s[28:29]
	global_store_short v[0:1], v3, off
	s_and_saveexec_b64 s[8:9], vcc
	s_cbranch_execz .LBB47_60
; %bb.54:                               ;   in Loop: Header=BB47_7 Depth=1
	scratch_load_dwordx4 v[4:7], off, off offset:960
	s_waitcnt vmcnt(0)
	v_add_u32_e32 v6, s39, v2
	v_mov_b32_e32 v7, v19
	v_add_u32_e32 v0, 2, v10
	v_lshl_add_u64 v[6:7], v[6:7], 1, s[28:29]
	v_cmp_gt_u32_e64 s[2:3], s22, v0
	v_mul_f32_e32 v1, s23, v4
	v_fma_mixlo_f16 v1, s33, v1, 0
	global_store_short v[6:7], v1, off
	s_and_b64 exec, exec, s[2:3]
	s_cbranch_execz .LBB47_60
; %bb.55:                               ;   in Loop: Header=BB47_7 Depth=1
	scratch_load_dwordx4 v[4:7], off, off offset:1024
	s_waitcnt vmcnt(0)
	v_add_u32_e32 v6, s39, v0
	v_mov_b32_e32 v7, v19
	v_add_u32_e32 v0, 3, v10
	v_lshl_add_u64 v[6:7], v[6:7], 1, s[28:29]
	v_cmp_gt_u32_e64 s[2:3], s22, v0
	v_mul_f32_e32 v1, s23, v4
	v_fma_mixlo_f16 v1, s33, v1, 0
	global_store_short v[6:7], v1, off
	s_and_b64 exec, exec, s[2:3]
	;; [unrolled: 13-line block ×5, first 2 shown]
	s_cbranch_execz .LBB47_60
; %bb.59:                               ;   in Loop: Header=BB47_7 Depth=1
	scratch_load_dwordx4 v[4:7], off, off offset:1280
	v_add_u32_e32 v0, s39, v0
	v_mov_b32_e32 v1, v19
	v_lshl_add_u64 v[0:1], v[0:1], 1, s[28:29]
	s_waitcnt vmcnt(0)
	v_mul_f32_e32 v3, s23, v4
	v_fma_mixlo_f16 v3, s33, v3, 0
	global_store_short v[0:1], v3, off
.LBB47_60:                              ;   in Loop: Header=BB47_7 Depth=1
	s_or_b64 exec, exec, s[8:9]
	scratch_load_dwordx4 v[4:7], off, off offset:1344
	v_add_u32_e32 v18, s22, v18
	s_waitcnt vmcnt(0)
	v_mul_f32_e32 v0, s23, v4
	v_fma_mixlo_f16 v3, s33, v0, 0
	v_lshl_add_u64 v[0:1], v[18:19], 1, s[28:29]
	global_store_short v[0:1], v3, off
	s_and_b64 exec, exec, vcc
	s_cbranch_execz .LBB47_6
; %bb.61:                               ;   in Loop: Header=BB47_7 Depth=1
	scratch_load_dwordx4 v[4:7], off, off offset:1408
	v_add_u32_e32 v18, s40, v2
	v_add_u32_e32 v0, 2, v10
	v_lshl_add_u64 v[2:3], v[18:19], 1, s[28:29]
	v_cmp_gt_u32_e32 vcc, s22, v0
	s_waitcnt vmcnt(0)
	v_mul_f32_e32 v1, s23, v4
	v_fma_mixlo_f16 v1, s33, v1, 0
	global_store_short v[2:3], v1, off
	s_and_b64 exec, exec, vcc
	s_cbranch_execz .LBB47_6
; %bb.62:                               ;   in Loop: Header=BB47_7 Depth=1
	scratch_load_dwordx4 v[2:5], off, off offset:1472
	v_add_u32_e32 v18, s40, v0
	v_add_u32_e32 v0, 3, v10
	s_waitcnt vmcnt(0)
	v_lshl_add_u64 v[4:5], v[18:19], 1, s[28:29]
	v_cmp_gt_u32_e32 vcc, s22, v0
	v_mul_f32_e32 v1, s23, v2
	v_fma_mixlo_f16 v1, s33, v1, 0
	global_store_short v[4:5], v1, off
	s_and_b64 exec, exec, vcc
	s_cbranch_execz .LBB47_6
; %bb.63:                               ;   in Loop: Header=BB47_7 Depth=1
	scratch_load_dwordx4 v[2:5], off, off offset:1536
	v_add_u32_e32 v18, s40, v0
	v_add_u32_e32 v0, 4, v10
	s_waitcnt vmcnt(0)
	v_lshl_add_u64 v[4:5], v[18:19], 1, s[28:29]
	v_cmp_gt_u32_e32 vcc, s22, v0
	;; [unrolled: 12-line block ×4, first 2 shown]
	v_mul_f32_e32 v1, s23, v2
	v_fma_mixlo_f16 v1, s33, v1, 0
	global_store_short v[4:5], v1, off
	s_and_b64 exec, exec, vcc
	s_cbranch_execz .LBB47_6
; %bb.66:                               ;   in Loop: Header=BB47_7 Depth=1
	scratch_load_dwordx4 v[2:5], off, off offset:1728
	v_add_u32_e32 v18, s40, v0
	s_waitcnt vmcnt(0)
	v_mul_f32_e32 v0, s23, v2
	v_fma_mixlo_f16 v2, s33, v0, 0
	v_lshl_add_u64 v[0:1], v[18:19], 1, s[28:29]
	global_store_short v[0:1], v2, off
	s_branch .LBB47_6
.LBB47_67:
	s_endpgm
	.section	.rodata,"a",@progbits
	.p2align	6, 0x0
	.amdhsa_kernel _Z13wvSplitKQ_hf_I6__halfN3c1015Float8_e4m3fnuzELi64ELi7ELi16ELi16ELi1ELi4EEviiiPKT0_S5_PT_PKfS9_ii
		.amdhsa_group_segment_fixed_size 65536
		.amdhsa_private_segment_fixed_size 3904
		.amdhsa_kernarg_size 64
		.amdhsa_user_sgpr_count 2
		.amdhsa_user_sgpr_dispatch_ptr 0
		.amdhsa_user_sgpr_queue_ptr 0
		.amdhsa_user_sgpr_kernarg_segment_ptr 1
		.amdhsa_user_sgpr_dispatch_id 0
		.amdhsa_user_sgpr_kernarg_preload_length 0
		.amdhsa_user_sgpr_kernarg_preload_offset 0
		.amdhsa_user_sgpr_private_segment_size 0
		.amdhsa_uses_dynamic_stack 0
		.amdhsa_enable_private_segment 1
		.amdhsa_system_sgpr_workgroup_id_x 1
		.amdhsa_system_sgpr_workgroup_id_y 0
		.amdhsa_system_sgpr_workgroup_id_z 0
		.amdhsa_system_sgpr_workgroup_info 0
		.amdhsa_system_vgpr_workitem_id 1
		.amdhsa_next_free_vgpr 128
		.amdhsa_next_free_sgpr 43
		.amdhsa_accum_offset 128
		.amdhsa_reserve_vcc 1
		.amdhsa_float_round_mode_32 0
		.amdhsa_float_round_mode_16_64 0
		.amdhsa_float_denorm_mode_32 3
		.amdhsa_float_denorm_mode_16_64 3
		.amdhsa_dx10_clamp 1
		.amdhsa_ieee_mode 1
		.amdhsa_fp16_overflow 0
		.amdhsa_tg_split 0
		.amdhsa_exception_fp_ieee_invalid_op 0
		.amdhsa_exception_fp_denorm_src 0
		.amdhsa_exception_fp_ieee_div_zero 0
		.amdhsa_exception_fp_ieee_overflow 0
		.amdhsa_exception_fp_ieee_underflow 0
		.amdhsa_exception_fp_ieee_inexact 0
		.amdhsa_exception_int_div_zero 0
	.end_amdhsa_kernel
	.section	.text._Z13wvSplitKQ_hf_I6__halfN3c1015Float8_e4m3fnuzELi64ELi7ELi16ELi16ELi1ELi4EEviiiPKT0_S5_PT_PKfS9_ii,"axG",@progbits,_Z13wvSplitKQ_hf_I6__halfN3c1015Float8_e4m3fnuzELi64ELi7ELi16ELi16ELi1ELi4EEviiiPKT0_S5_PT_PKfS9_ii,comdat
.Lfunc_end47:
	.size	_Z13wvSplitKQ_hf_I6__halfN3c1015Float8_e4m3fnuzELi64ELi7ELi16ELi16ELi1ELi4EEviiiPKT0_S5_PT_PKfS9_ii, .Lfunc_end47-_Z13wvSplitKQ_hf_I6__halfN3c1015Float8_e4m3fnuzELi64ELi7ELi16ELi16ELi1ELi4EEviiiPKT0_S5_PT_PKfS9_ii
                                        ; -- End function
	.section	.AMDGPU.csdata,"",@progbits
; Kernel info:
; codeLenInByte = 10908
; NumSgprs: 49
; NumVgprs: 128
; NumAgprs: 0
; TotalNumVgprs: 128
; ScratchSize: 3904
; MemoryBound: 1
; FloatMode: 240
; IeeeMode: 1
; LDSByteSize: 65536 bytes/workgroup (compile time only)
; SGPRBlocks: 6
; VGPRBlocks: 15
; NumSGPRsForWavesPerEU: 49
; NumVGPRsForWavesPerEU: 128
; AccumOffset: 128
; Occupancy: 4
; WaveLimiterHint : 1
; COMPUTE_PGM_RSRC2:SCRATCH_EN: 1
; COMPUTE_PGM_RSRC2:USER_SGPR: 2
; COMPUTE_PGM_RSRC2:TRAP_HANDLER: 0
; COMPUTE_PGM_RSRC2:TGID_X_EN: 1
; COMPUTE_PGM_RSRC2:TGID_Y_EN: 0
; COMPUTE_PGM_RSRC2:TGID_Z_EN: 0
; COMPUTE_PGM_RSRC2:TIDIG_COMP_CNT: 1
; COMPUTE_PGM_RSRC3_GFX90A:ACCUM_OFFSET: 31
; COMPUTE_PGM_RSRC3_GFX90A:TG_SPLIT: 0
	.section	.text._Z17wvSplitKQ_hf_sml_I14__hip_bfloat16N3c1013Float8_e4m3fnELi64ELi2ELi16ELi16ELi2ELi1EEviiiPKT0_S5_PT_PKfS9_ii,"axG",@progbits,_Z17wvSplitKQ_hf_sml_I14__hip_bfloat16N3c1013Float8_e4m3fnELi64ELi2ELi16ELi16ELi2ELi1EEviiiPKT0_S5_PT_PKfS9_ii,comdat
	.protected	_Z17wvSplitKQ_hf_sml_I14__hip_bfloat16N3c1013Float8_e4m3fnELi64ELi2ELi16ELi16ELi2ELi1EEviiiPKT0_S5_PT_PKfS9_ii ; -- Begin function _Z17wvSplitKQ_hf_sml_I14__hip_bfloat16N3c1013Float8_e4m3fnELi64ELi2ELi16ELi16ELi2ELi1EEviiiPKT0_S5_PT_PKfS9_ii
	.globl	_Z17wvSplitKQ_hf_sml_I14__hip_bfloat16N3c1013Float8_e4m3fnELi64ELi2ELi16ELi16ELi2ELi1EEviiiPKT0_S5_PT_PKfS9_ii
	.p2align	8
	.type	_Z17wvSplitKQ_hf_sml_I14__hip_bfloat16N3c1013Float8_e4m3fnELi64ELi2ELi16ELi16ELi2ELi1EEviiiPKT0_S5_PT_PKfS9_ii,@function
_Z17wvSplitKQ_hf_sml_I14__hip_bfloat16N3c1013Float8_e4m3fnELi64ELi2ELi16ELi16ELi2ELi1EEviiiPKT0_S5_PT_PKfS9_ii: ; @_Z17wvSplitKQ_hf_sml_I14__hip_bfloat16N3c1013Float8_e4m3fnELi64ELi2ELi16ELi16ELi2ELi1EEviiiPKT0_S5_PT_PKfS9_ii
; %bb.0:
	s_load_dwordx4 s[8:11], s[0:1], 0x0
	s_load_dwordx4 s[4:7], s[0:1], 0x28
	v_bfe_u32 v1, v0, 10, 10
	v_and_b32_e32 v0, 0x3ff, v0
	v_lshlrev_b32_e32 v60, 4, v0
	v_lshl_add_u32 v2, v1, 10, v60
	s_waitcnt lgkmcnt(0)
	s_min_i32 s3, s8, 0x10000
	v_cmp_gt_u32_e32 vcc, s3, v2
	s_and_saveexec_b64 s[12:13], vcc
	s_cbranch_execz .LBB48_3
; %bb.1:
	s_load_dwordx2 s[14:15], s[0:1], 0x18
	s_mov_b64 s[16:17], 0
.LBB48_2:                               ; =>This Inner Loop Header: Depth=1
	s_waitcnt lgkmcnt(0)
	global_load_dwordx4 v[4:7], v2, s[14:15]
	s_waitcnt vmcnt(0)
	ds_write_b128 v2, v[4:7]
	v_add_u32_e32 v2, 0x4000, v2
	v_cmp_le_u32_e32 vcc, s3, v2
	s_or_b64 s[16:17], vcc, s[16:17]
	s_andn2_b64 exec, exec, s[16:17]
	s_cbranch_execnz .LBB48_2
.LBB48_3:
	s_or_b64 exec, exec, s[12:13]
	s_load_dwordx2 s[16:17], s[0:1], 0x38
	s_waitcnt lgkmcnt(0)
	s_barrier
	v_cmp_gt_u32_e32 vcc, s16, v1
	s_and_saveexec_b64 s[12:13], vcc
	s_cbranch_execz .LBB48_30
; %bb.4:
	s_mul_i32 s2, s2, s16
	v_add_lshl_u32 v56, s2, v1, 1
	v_cmp_gt_u32_e32 vcc, s10, v56
	s_and_b64 exec, exec, vcc
	s_cbranch_execz .LBB48_30
; %bb.5:
	s_load_dword s11, s[4:5], 0x0
	s_load_dword s22, s[6:7], 0x0
	s_load_dwordx2 s[12:13], s[0:1], 0x10
	s_load_dwordx2 s[14:15], s[0:1], 0x20
	s_cmp_lg_u32 s8, 0
	s_cselect_b64 s[2:3], -1, 0
	v_cmp_eq_u32_e64 s[0:1], 0, v0
	v_cndmask_b32_e64 v0, 0, 1, s[2:3]
	v_cmp_ne_u32_e64 s[2:3], 1, v0
	v_mbcnt_lo_u32_b32 v0, -1, 0
	v_mbcnt_hi_u32_b32 v0, -1, v0
	s_mul_i32 s4, s16, s17
	v_lshlrev_b32_e32 v0, 2, v0
	s_mov_b32 s7, 0
	s_lshl_b32 s23, s4, 1
	s_mov_b32 s6, s9
	s_mov_b64 s[16:17], 0
	v_mov_b32_e32 v59, 0
	v_and_b32_e32 v61, 0x100, v0
	s_mov_b32 s24, 0x7f800000
	s_movk_i32 s25, 0x7fff
	s_branch .LBB48_8
.LBB48_6:                               ;   in Loop: Header=BB48_8 Depth=1
	s_or_b64 exec, exec, s[18:19]
	global_store_short_d16_hi v[0:1], v3, off offset:2
.LBB48_7:                               ;   in Loop: Header=BB48_8 Depth=1
	s_or_b64 exec, exec, s[4:5]
	v_add_u32_e32 v56, s23, v56
	v_cmp_le_u32_e32 vcc, s10, v56
	s_or_b64 s[16:17], vcc, s[16:17]
	s_andn2_b64 exec, exec, s[16:17]
	s_cbranch_execz .LBB48_30
.LBB48_8:                               ; =>This Loop Header: Depth=1
                                        ;     Child Loop BB48_11 Depth 2
	s_and_b64 vcc, exec, s[2:3]
	v_mov_b32_e32 v31, v59
	v_mov_b32_e32 v30, v59
	;; [unrolled: 1-line block ×13, first 2 shown]
	s_waitcnt lgkmcnt(0)
	v_mov_b32_e32 v18, v59
	v_mov_b32_e32 v17, v59
	;; [unrolled: 1-line block ×19, first 2 shown]
	s_cbranch_vccnz .LBB48_21
; %bb.9:                                ;   in Loop: Header=BB48_8 Depth=1
	v_mov_b32_e32 v0, 0
	v_mul_lo_u32 v57, v56, s9
	s_mov_b32 s26, 0
	v_mov_b32_e32 v1, v0
	v_mov_b32_e32 v2, v0
	;; [unrolled: 1-line block ×31, first 2 shown]
	s_branch .LBB48_11
.LBB48_10:                              ;   in Loop: Header=BB48_11 Depth=2
	s_addk_i32 s26, 0x800
	s_cmp_ge_u32 s26, s8
	s_cbranch_scc1 .LBB48_21
.LBB48_11:                              ;   Parent Loop BB48_8 Depth=1
                                        ; =>  This Inner Loop Header: Depth=2
	v_add_u32_e32 v62, s26, v60
	v_mov_b64_e32 v[32:33], 0
	v_cmp_gt_u32_e32 vcc, s8, v62
	v_add_u32_e32 v63, 0x400, v62
	v_mov_b64_e32 v[40:41], v[32:33]
	v_mov_b64_e32 v[42:43], v[32:33]
	;; [unrolled: 1-line block ×8, first 2 shown]
	s_and_saveexec_b64 s[18:19], vcc
	s_cbranch_execz .LBB48_15
; %bb.12:                               ;   in Loop: Header=BB48_11 Depth=2
	v_add_u32_e32 v58, v62, v57
	s_waitcnt lgkmcnt(0)
	v_lshl_add_u64 v[34:35], s[12:13], 0, v[58:59]
	v_lshl_add_u64 v[34:35], v[34:35], 0, s[6:7]
	global_load_dwordx4 v[48:51], v58, s[12:13] nt
	global_load_dwordx4 v[36:39], v[34:35], off nt
	v_mov_b64_e32 v[46:47], 0
	v_cmp_gt_u32_e64 s[4:5], s8, v63
	v_mov_b64_e32 v[44:45], v[46:47]
	v_mov_b64_e32 v[42:43], v[46:47]
	;; [unrolled: 1-line block ×3, first 2 shown]
	s_and_saveexec_b64 s[20:21], s[4:5]
	s_cbranch_execz .LBB48_14
; %bb.13:                               ;   in Loop: Header=BB48_11 Depth=2
	v_add_u32_e32 v58, v63, v57
	v_lshl_add_u64 v[34:35], s[12:13], 0, v[58:59]
	v_lshl_add_u64 v[34:35], v[34:35], 0, s[6:7]
	global_load_dwordx4 v[44:47], v58, s[12:13] nt
	global_load_dwordx4 v[40:43], v[34:35], off nt
.LBB48_14:                              ;   in Loop: Header=BB48_11 Depth=2
	s_or_b64 exec, exec, s[20:21]
.LBB48_15:                              ;   in Loop: Header=BB48_11 Depth=2
	s_or_b64 exec, exec, s[18:19]
	v_mov_b64_e32 v[34:35], v[32:33]
	v_mov_b64_e32 v[52:53], v[32:33]
	;; [unrolled: 1-line block ×3, first 2 shown]
	s_and_saveexec_b64 s[4:5], vcc
	s_cbranch_execz .LBB48_19
; %bb.16:                               ;   in Loop: Header=BB48_11 Depth=2
	ds_read_b128 v[52:55], v62
	v_mov_b64_e32 v[34:35], 0
	v_cmp_gt_u32_e32 vcc, s8, v63
	v_mov_b64_e32 v[32:33], v[34:35]
	s_and_saveexec_b64 s[18:19], vcc
	s_cbranch_execz .LBB48_18
; %bb.17:                               ;   in Loop: Header=BB48_11 Depth=2
	ds_read_b128 v[32:35], v62 offset:1024
.LBB48_18:                              ;   in Loop: Header=BB48_11 Depth=2
	s_or_b64 exec, exec, s[18:19]
.LBB48_19:                              ;   in Loop: Header=BB48_11 Depth=2
	s_or_b64 exec, exec, s[4:5]
	s_waitcnt vmcnt(1) lgkmcnt(0)
	v_mfma_f32_32x32x16_fp8_fp8 v[16:31], v[52:53], v[48:49], v[16:31]
	s_or_b32 s4, s26, 0x400
	s_cmp_ge_u32 s4, s8
	s_waitcnt vmcnt(0)
	v_mfma_f32_32x32x16_fp8_fp8 v[0:15], v[52:53], v[36:37], v[0:15]
	v_mfma_f32_32x32x16_fp8_fp8 v[16:31], v[54:55], v[50:51], v[16:31]
	v_mfma_f32_32x32x16_fp8_fp8 v[0:15], v[54:55], v[38:39], v[0:15]
	s_cbranch_scc1 .LBB48_10
; %bb.20:                               ;   in Loop: Header=BB48_11 Depth=2
	v_mfma_f32_32x32x16_fp8_fp8 v[16:31], v[32:33], v[44:45], v[16:31]
	v_mfma_f32_32x32x16_fp8_fp8 v[0:15], v[32:33], v[40:41], v[0:15]
	;; [unrolled: 1-line block ×4, first 2 shown]
	s_branch .LBB48_10
.LBB48_21:                              ;   in Loop: Header=BB48_8 Depth=1
	;;#ASMSTART
	v_add_f32 v24, v25, v24 row_shl:1 bound_ctrl:0 
	;;#ASMEND
	;;#ASMSTART
	v_add_f32 v8, v9, v8 row_shl:1 bound_ctrl:0 
	;;#ASMEND
	;;#ASMSTART
	v_add_f32 v16, v17, v16 row_shl:1 bound_ctrl:0 
	;;#ASMEND
	;;#ASMSTART
	v_add_f32 v0, v1, v0 row_shl:1 bound_ctrl:0 
	;;#ASMEND
	s_nop 0
	;;#ASMSTART
	v_add_f32 v24, v26, v24 row_shl:2 bound_ctrl:0 
	;;#ASMEND
	;;#ASMSTART
	v_add_f32 v8, v10, v8 row_shl:2 bound_ctrl:0 
	;;#ASMEND
	;;#ASMSTART
	v_add_f32 v16, v18, v16 row_shl:2 bound_ctrl:0 
	;;#ASMEND
	;;#ASMSTART
	v_add_f32 v0, v2, v0 row_shl:2 bound_ctrl:0 
	;;#ASMEND
	s_nop 0
	;; [unrolled: 13-line block ×6, first 2 shown]
	;;#ASMSTART
	v_add_f32 v24, v31, v24 row_shl:11 bound_ctrl:0 
	;;#ASMEND
	ds_bpermute_b32 v18, v61, v24 offset:208
	;;#ASMSTART
	v_add_f32 v8, v15, v8 row_shl:11 bound_ctrl:0 
	;;#ASMEND
	ds_bpermute_b32 v2, v61, v8 offset:208
	;; [unrolled: 4-line block ×3, first 2 shown]
	s_waitcnt lgkmcnt(0)
	v_add_f32_e32 v18, v24, v18
	ds_bpermute_b32 v18, v61, v18 offset:64
	v_add_f32_e32 v2, v8, v2
	;;#ASMSTART
	v_add_f32 v0, v7, v0 row_shl:11 bound_ctrl:0 
	;;#ASMEND
	ds_bpermute_b32 v1, v61, v0 offset:144
	ds_bpermute_b32 v2, v61, v2 offset:64
	s_and_saveexec_b64 s[4:5], s[0:1]
	s_cbranch_execz .LBB48_7
; %bb.22:                               ;   in Loop: Header=BB48_8 Depth=1
	v_add_f32_e32 v3, v16, v17
	s_waitcnt lgkmcnt(2)
	v_add_f32_e32 v3, v3, v18
	v_mul_f32_e32 v3, s11, v3
	v_mul_f32_e32 v4, s22, v3
	v_and_b32_e32 v3, 0x7f800000, v4
	v_cmp_ne_u32_e32 vcc, s24, v3
                                        ; implicit-def: $vgpr3
	s_and_saveexec_b64 s[18:19], vcc
	s_xor_b64 s[18:19], exec, s[18:19]
; %bb.23:                               ;   in Loop: Header=BB48_8 Depth=1
	v_bfe_u32 v3, v4, 16, 1
	v_add3_u32 v3, v4, v3, s25
                                        ; implicit-def: $vgpr4
; %bb.24:                               ;   in Loop: Header=BB48_8 Depth=1
	s_andn2_saveexec_b64 s[18:19], s[18:19]
; %bb.25:                               ;   in Loop: Header=BB48_8 Depth=1
	v_or_b32_e32 v3, 0x10000, v4
	v_cmp_eq_u32_sdwa vcc, v4, v59 src0_sel:WORD_0 src1_sel:DWORD
	s_nop 1
	v_cndmask_b32_e32 v3, v3, v4, vcc
; %bb.26:                               ;   in Loop: Header=BB48_8 Depth=1
	s_or_b64 exec, exec, s[18:19]
	s_waitcnt lgkmcnt(1)
	v_add_f32_e32 v0, v0, v1
	s_waitcnt lgkmcnt(0)
	v_add_f32_e32 v2, v0, v2
	v_mov_b32_e32 v57, v59
	v_mul_f32_e32 v2, s11, v2
	v_lshl_add_u64 v[0:1], v[56:57], 1, s[14:15]
	v_mul_f32_e32 v2, s22, v2
	global_store_short_d16_hi v[0:1], v3, off
	v_and_b32_e32 v3, 0x7f800000, v2
	v_cmp_ne_u32_e32 vcc, s24, v3
                                        ; implicit-def: $vgpr3
	s_and_saveexec_b64 s[18:19], vcc
	s_xor_b64 s[18:19], exec, s[18:19]
; %bb.27:                               ;   in Loop: Header=BB48_8 Depth=1
	v_bfe_u32 v3, v2, 16, 1
	v_add3_u32 v3, v2, v3, s25
                                        ; implicit-def: $vgpr2
; %bb.28:                               ;   in Loop: Header=BB48_8 Depth=1
	s_andn2_saveexec_b64 s[18:19], s[18:19]
	s_cbranch_execz .LBB48_6
; %bb.29:                               ;   in Loop: Header=BB48_8 Depth=1
	v_or_b32_e32 v3, 0x10000, v2
	v_cmp_eq_u32_sdwa vcc, v2, v59 src0_sel:WORD_0 src1_sel:DWORD
	s_nop 1
	v_cndmask_b32_e32 v3, v3, v2, vcc
	s_branch .LBB48_6
.LBB48_30:
	s_endpgm
	.section	.rodata,"a",@progbits
	.p2align	6, 0x0
	.amdhsa_kernel _Z17wvSplitKQ_hf_sml_I14__hip_bfloat16N3c1013Float8_e4m3fnELi64ELi2ELi16ELi16ELi2ELi1EEviiiPKT0_S5_PT_PKfS9_ii
		.amdhsa_group_segment_fixed_size 65536
		.amdhsa_private_segment_fixed_size 0
		.amdhsa_kernarg_size 64
		.amdhsa_user_sgpr_count 2
		.amdhsa_user_sgpr_dispatch_ptr 0
		.amdhsa_user_sgpr_queue_ptr 0
		.amdhsa_user_sgpr_kernarg_segment_ptr 1
		.amdhsa_user_sgpr_dispatch_id 0
		.amdhsa_user_sgpr_kernarg_preload_length 0
		.amdhsa_user_sgpr_kernarg_preload_offset 0
		.amdhsa_user_sgpr_private_segment_size 0
		.amdhsa_uses_dynamic_stack 0
		.amdhsa_enable_private_segment 0
		.amdhsa_system_sgpr_workgroup_id_x 1
		.amdhsa_system_sgpr_workgroup_id_y 0
		.amdhsa_system_sgpr_workgroup_id_z 0
		.amdhsa_system_sgpr_workgroup_info 0
		.amdhsa_system_vgpr_workitem_id 1
		.amdhsa_next_free_vgpr 64
		.amdhsa_next_free_sgpr 27
		.amdhsa_accum_offset 64
		.amdhsa_reserve_vcc 1
		.amdhsa_float_round_mode_32 0
		.amdhsa_float_round_mode_16_64 0
		.amdhsa_float_denorm_mode_32 3
		.amdhsa_float_denorm_mode_16_64 3
		.amdhsa_dx10_clamp 1
		.amdhsa_ieee_mode 1
		.amdhsa_fp16_overflow 0
		.amdhsa_tg_split 0
		.amdhsa_exception_fp_ieee_invalid_op 0
		.amdhsa_exception_fp_denorm_src 0
		.amdhsa_exception_fp_ieee_div_zero 0
		.amdhsa_exception_fp_ieee_overflow 0
		.amdhsa_exception_fp_ieee_underflow 0
		.amdhsa_exception_fp_ieee_inexact 0
		.amdhsa_exception_int_div_zero 0
	.end_amdhsa_kernel
	.section	.text._Z17wvSplitKQ_hf_sml_I14__hip_bfloat16N3c1013Float8_e4m3fnELi64ELi2ELi16ELi16ELi2ELi1EEviiiPKT0_S5_PT_PKfS9_ii,"axG",@progbits,_Z17wvSplitKQ_hf_sml_I14__hip_bfloat16N3c1013Float8_e4m3fnELi64ELi2ELi16ELi16ELi2ELi1EEviiiPKT0_S5_PT_PKfS9_ii,comdat
.Lfunc_end48:
	.size	_Z17wvSplitKQ_hf_sml_I14__hip_bfloat16N3c1013Float8_e4m3fnELi64ELi2ELi16ELi16ELi2ELi1EEviiiPKT0_S5_PT_PKfS9_ii, .Lfunc_end48-_Z17wvSplitKQ_hf_sml_I14__hip_bfloat16N3c1013Float8_e4m3fnELi64ELi2ELi16ELi16ELi2ELi1EEviiiPKT0_S5_PT_PKfS9_ii
                                        ; -- End function
	.section	.AMDGPU.csdata,"",@progbits
; Kernel info:
; codeLenInByte = 1504
; NumSgprs: 33
; NumVgprs: 64
; NumAgprs: 0
; TotalNumVgprs: 64
; ScratchSize: 0
; MemoryBound: 1
; FloatMode: 240
; IeeeMode: 1
; LDSByteSize: 65536 bytes/workgroup (compile time only)
; SGPRBlocks: 4
; VGPRBlocks: 7
; NumSGPRsForWavesPerEU: 33
; NumVGPRsForWavesPerEU: 64
; AccumOffset: 64
; Occupancy: 4
; WaveLimiterHint : 0
; COMPUTE_PGM_RSRC2:SCRATCH_EN: 0
; COMPUTE_PGM_RSRC2:USER_SGPR: 2
; COMPUTE_PGM_RSRC2:TRAP_HANDLER: 0
; COMPUTE_PGM_RSRC2:TGID_X_EN: 1
; COMPUTE_PGM_RSRC2:TGID_Y_EN: 0
; COMPUTE_PGM_RSRC2:TGID_Z_EN: 0
; COMPUTE_PGM_RSRC2:TIDIG_COMP_CNT: 1
; COMPUTE_PGM_RSRC3_GFX90A:ACCUM_OFFSET: 15
; COMPUTE_PGM_RSRC3_GFX90A:TG_SPLIT: 0
	.section	.text._Z13wvSplitKQ_hf_I14__hip_bfloat16N3c1013Float8_e4m3fnELi64ELi2ELi16ELi16ELi2ELi1EEviiiPKT0_S5_PT_PKfS9_ii,"axG",@progbits,_Z13wvSplitKQ_hf_I14__hip_bfloat16N3c1013Float8_e4m3fnELi64ELi2ELi16ELi16ELi2ELi1EEviiiPKT0_S5_PT_PKfS9_ii,comdat
	.protected	_Z13wvSplitKQ_hf_I14__hip_bfloat16N3c1013Float8_e4m3fnELi64ELi2ELi16ELi16ELi2ELi1EEviiiPKT0_S5_PT_PKfS9_ii ; -- Begin function _Z13wvSplitKQ_hf_I14__hip_bfloat16N3c1013Float8_e4m3fnELi64ELi2ELi16ELi16ELi2ELi1EEviiiPKT0_S5_PT_PKfS9_ii
	.globl	_Z13wvSplitKQ_hf_I14__hip_bfloat16N3c1013Float8_e4m3fnELi64ELi2ELi16ELi16ELi2ELi1EEviiiPKT0_S5_PT_PKfS9_ii
	.p2align	8
	.type	_Z13wvSplitKQ_hf_I14__hip_bfloat16N3c1013Float8_e4m3fnELi64ELi2ELi16ELi16ELi2ELi1EEviiiPKT0_S5_PT_PKfS9_ii,@function
_Z13wvSplitKQ_hf_I14__hip_bfloat16N3c1013Float8_e4m3fnELi64ELi2ELi16ELi16ELi2ELi1EEviiiPKT0_S5_PT_PKfS9_ii: ; @_Z13wvSplitKQ_hf_I14__hip_bfloat16N3c1013Float8_e4m3fnELi64ELi2ELi16ELi16ELi2ELi1EEviiiPKT0_S5_PT_PKfS9_ii
; %bb.0:
	s_load_dwordx4 s[12:15], s[0:1], 0x0
	s_load_dwordx2 s[10:11], s[0:1], 0x18
	s_load_dwordx4 s[4:7], s[0:1], 0x28
	v_bfe_u32 v1, v0, 10, 10
	v_and_b32_e32 v0, 0x3ff, v0
	v_lshlrev_b32_e32 v60, 4, v0
	v_lshl_add_u32 v2, v1, 10, v60
	s_waitcnt lgkmcnt(0)
	s_min_i32 s3, s12, 0x10000
	v_cmp_gt_u32_e32 vcc, s3, v2
	s_and_saveexec_b64 s[8:9], vcc
	s_cbranch_execz .LBB49_3
; %bb.1:
	s_mov_b64 s[16:17], 0
.LBB49_2:                               ; =>This Inner Loop Header: Depth=1
	global_load_dwordx4 v[4:7], v2, s[10:11]
	s_waitcnt vmcnt(0)
	ds_write_b128 v2, v[4:7]
	v_add_u32_e32 v2, 0x4000, v2
	v_cmp_le_u32_e32 vcc, s3, v2
	s_or_b64 s[16:17], vcc, s[16:17]
	s_andn2_b64 exec, exec, s[16:17]
	s_cbranch_execnz .LBB49_2
.LBB49_3:
	s_or_b64 exec, exec, s[8:9]
	s_load_dwordx2 s[8:9], s[0:1], 0x38
	s_waitcnt lgkmcnt(0)
	s_barrier
	v_cmp_gt_u32_e32 vcc, s8, v1
	s_and_saveexec_b64 s[16:17], vcc
	s_cbranch_execz .LBB49_44
; %bb.4:
	s_mul_i32 s2, s2, s8
	v_add_lshl_u32 v56, s2, v1, 1
	v_cmp_gt_u32_e32 vcc, s14, v56
	s_and_b64 exec, exec, vcc
	s_cbranch_execz .LBB49_44
; %bb.5:
	s_load_dword s15, s[4:5], 0x0
	s_load_dword s28, s[6:7], 0x0
	s_load_dwordx2 s[16:17], s[0:1], 0x10
	s_load_dwordx2 s[18:19], s[0:1], 0x20
	s_cmp_lg_u32 s12, 0
	s_cselect_b64 s[2:3], -1, 0
	v_cmp_eq_u32_e64 s[0:1], 0, v0
	v_cndmask_b32_e64 v0, 0, 1, s[2:3]
	v_cmp_ne_u32_e64 s[2:3], 1, v0
	v_mbcnt_lo_u32_b32 v0, -1, 0
	v_mbcnt_hi_u32_b32 v0, -1, v0
	s_mul_i32 s4, s8, s9
	v_lshlrev_b32_e32 v0, 2, v0
	s_lshl_b32 s29, s4, 1
	s_ashr_i32 s21, s13, 31
	s_mov_b32 s20, s13
	s_mov_b64 s[22:23], 0
	v_mov_b32_e32 v59, 0
	s_mov_b32 s30, 0xffff
	v_and_b32_e32 v61, 0x100, v0
	s_mov_b32 s31, 0x7f800000
	s_movk_i32 s33, 0x7fff
                                        ; implicit-def: $vgpr40_vgpr41_vgpr42_vgpr43
                                        ; implicit-def: $vgpr44_vgpr45_vgpr46_vgpr47
                                        ; implicit-def: $vgpr32_vgpr33_vgpr34_vgpr35
                                        ; implicit-def: $vgpr36_vgpr37_vgpr38_vgpr39
                                        ; implicit-def: $vgpr50_vgpr51
                                        ; implicit-def: $vgpr54_vgpr55
	s_branch .LBB49_8
.LBB49_6:                               ;   in Loop: Header=BB49_8 Depth=1
	s_or_b64 exec, exec, s[6:7]
	global_store_short_d16_hi v[2:3], v1, off offset:2
.LBB49_7:                               ;   in Loop: Header=BB49_8 Depth=1
	s_or_b64 exec, exec, s[4:5]
	v_add_u32_e32 v56, s29, v56
	v_cmp_le_u32_e32 vcc, s14, v56
	s_or_b64 s[22:23], vcc, s[22:23]
	s_andn2_b64 exec, exec, s[22:23]
	s_cbranch_execz .LBB49_44
.LBB49_8:                               ; =>This Loop Header: Depth=1
                                        ;     Child Loop BB49_12 Depth 2
	v_or_b32_e32 v62, 1, v56
	s_and_b64 vcc, exec, s[2:3]
	v_cmp_gt_u32_e64 s[4:5], s14, v62
	s_cbranch_vccnz .LBB49_33
; %bb.9:                                ;   in Loop: Header=BB49_8 Depth=1
	v_mov_b32_e32 v0, 0
	v_mul_lo_u32 v57, v56, s13
	s_mov_b32 s34, 0
	s_waitcnt lgkmcnt(0)
	v_mov_b32_e32 v1, v0
	v_mov_b32_e32 v2, v0
	;; [unrolled: 1-line block ×31, first 2 shown]
	s_branch .LBB49_12
.LBB49_10:                              ;   in Loop: Header=BB49_12 Depth=2
	s_or_b64 exec, exec, s[8:9]
.LBB49_11:                              ;   in Loop: Header=BB49_12 Depth=2
	s_or_b64 exec, exec, s[6:7]
	s_addk_i32 s34, 0x800
	s_cmp_ge_u32 s34, s12
	s_cbranch_scc1 .LBB49_34
.LBB49_12:                              ;   Parent Loop BB49_8 Depth=1
                                        ; =>  This Inner Loop Header: Depth=2
	v_add_u32_e32 v63, s34, v60
	v_cmp_gt_u32_e32 vcc, s12, v63
	s_and_saveexec_b64 s[24:25], vcc
	s_cbranch_execz .LBB49_30
; %bb.13:                               ;   in Loop: Header=BB49_12 Depth=2
	v_add_u32_e32 v58, v63, v57
	s_waitcnt lgkmcnt(0)
	global_load_dwordx4 v[36:39], v58, s[16:17] nt
	s_and_saveexec_b64 s[6:7], s[4:5]
	s_cbranch_execz .LBB49_15
; %bb.14:                               ;   in Loop: Header=BB49_12 Depth=2
	s_waitcnt vmcnt(1)
	v_lshl_add_u64 v[44:45], s[16:17], 0, v[58:59]
	v_lshl_add_u64 v[44:45], v[44:45], 0, s[20:21]
	global_load_dwordx4 v[44:47], v[44:45], off nt
.LBB49_15:                              ;   in Loop: Header=BB49_12 Depth=2
	s_or_b64 exec, exec, s[6:7]
	v_add_u32_e32 v64, 0x400, v63
	v_cmp_gt_u32_e64 s[6:7], s12, v64
	s_and_saveexec_b64 s[8:9], s[6:7]
	s_cbranch_execz .LBB49_19
; %bb.16:                               ;   in Loop: Header=BB49_12 Depth=2
	v_add_u32_e32 v58, v64, v57
	global_load_dwordx4 v[32:35], v58, s[16:17] nt
	s_and_saveexec_b64 s[26:27], s[4:5]
	s_cbranch_execz .LBB49_18
; %bb.17:                               ;   in Loop: Header=BB49_12 Depth=2
	s_waitcnt vmcnt(2)
	v_lshl_add_u64 v[40:41], s[16:17], 0, v[58:59]
	v_lshl_add_u64 v[40:41], v[40:41], 0, s[20:21]
	global_load_dwordx4 v[40:43], v[40:41], off nt
.LBB49_18:                              ;   in Loop: Header=BB49_12 Depth=2
	s_or_b64 exec, exec, s[26:27]
.LBB49_19:                              ;   in Loop: Header=BB49_12 Depth=2
	s_or_b64 exec, exec, s[8:9]
	v_cmp_lt_u32_e64 s[8:9], s30, v63
                                        ; implicit-def: $vgpr52_vgpr53
	s_and_saveexec_b64 s[26:27], s[8:9]
	s_xor_b64 s[8:9], exec, s[26:27]
	s_cbranch_execnz .LBB49_22
; %bb.20:                               ;   in Loop: Header=BB49_12 Depth=2
	s_andn2_saveexec_b64 s[8:9], s[8:9]
	s_cbranch_execnz .LBB49_23
.LBB49_21:                              ;   in Loop: Header=BB49_12 Depth=2
	s_or_b64 exec, exec, s[8:9]
	s_and_saveexec_b64 s[8:9], s[6:7]
	s_cbranch_execnz .LBB49_24
	s_branch .LBB49_29
.LBB49_22:                              ;   in Loop: Header=BB49_12 Depth=2
	global_load_dwordx4 v[52:55], v63, s[10:11]
	s_andn2_saveexec_b64 s[8:9], s[8:9]
	s_cbranch_execz .LBB49_21
.LBB49_23:                              ;   in Loop: Header=BB49_12 Depth=2
	s_waitcnt vmcnt(0)
	ds_read_b128 v[52:55], v63
	s_or_b64 exec, exec, s[8:9]
	s_and_saveexec_b64 s[8:9], s[6:7]
	s_cbranch_execz .LBB49_29
.LBB49_24:                              ;   in Loop: Header=BB49_12 Depth=2
	v_cmp_lt_u32_e64 s[6:7], s30, v64
                                        ; implicit-def: $vgpr48_vgpr49
	s_and_saveexec_b64 s[26:27], s[6:7]
	s_xor_b64 s[6:7], exec, s[26:27]
	s_cbranch_execz .LBB49_26
; %bb.25:                               ;   in Loop: Header=BB49_12 Depth=2
	global_load_dwordx4 v[48:51], v64, s[10:11]
.LBB49_26:                              ;   in Loop: Header=BB49_12 Depth=2
	s_andn2_saveexec_b64 s[6:7], s[6:7]
	s_cbranch_execz .LBB49_28
; %bb.27:                               ;   in Loop: Header=BB49_12 Depth=2
	s_waitcnt vmcnt(0)
	ds_read_b128 v[48:51], v63 offset:1024
.LBB49_28:                              ;   in Loop: Header=BB49_12 Depth=2
	s_or_b64 exec, exec, s[6:7]
.LBB49_29:                              ;   in Loop: Header=BB49_12 Depth=2
	s_or_b64 exec, exec, s[8:9]
.LBB49_30:                              ;   in Loop: Header=BB49_12 Depth=2
	s_or_b64 exec, exec, s[24:25]
	s_and_saveexec_b64 s[6:7], vcc
	s_cbranch_execz .LBB49_11
; %bb.31:                               ;   in Loop: Header=BB49_12 Depth=2
	s_waitcnt vmcnt(0) lgkmcnt(0)
	v_mfma_f32_32x32x16_fp8_fp8 v[16:31], v[52:53], v[36:37], v[16:31]
	v_add_u32_e32 v58, 0x400, v63
	v_cmp_gt_u32_e32 vcc, s12, v58
	v_mfma_f32_32x32x16_fp8_fp8 v[0:15], v[52:53], v[44:45], v[0:15]
	v_mfma_f32_32x32x16_fp8_fp8 v[16:31], v[54:55], v[38:39], v[16:31]
	;; [unrolled: 1-line block ×3, first 2 shown]
	s_and_saveexec_b64 s[8:9], vcc
	s_cbranch_execz .LBB49_10
; %bb.32:                               ;   in Loop: Header=BB49_12 Depth=2
	v_mfma_f32_32x32x16_fp8_fp8 v[16:31], v[48:49], v[32:33], v[16:31]
	v_mfma_f32_32x32x16_fp8_fp8 v[0:15], v[48:49], v[40:41], v[0:15]
	;; [unrolled: 1-line block ×4, first 2 shown]
	s_branch .LBB49_10
.LBB49_33:                              ;   in Loop: Header=BB49_8 Depth=1
	v_mov_b32_e32 v31, v59
	v_mov_b32_e32 v30, v59
	;; [unrolled: 1-line block ×13, first 2 shown]
	s_waitcnt lgkmcnt(0)
	v_mov_b32_e32 v18, v59
	v_mov_b32_e32 v17, v59
	;; [unrolled: 1-line block ×19, first 2 shown]
.LBB49_34:                              ;   in Loop: Header=BB49_8 Depth=1
	;;#ASMSTART
	v_add_f32 v24, v25, v24 row_shl:1 bound_ctrl:0 
	;;#ASMEND
	;;#ASMSTART
	v_add_f32 v8, v9, v8 row_shl:1 bound_ctrl:0 
	;;#ASMEND
	;;#ASMSTART
	v_add_f32 v16, v17, v16 row_shl:1 bound_ctrl:0 
	;;#ASMEND
	;;#ASMSTART
	v_add_f32 v0, v1, v0 row_shl:1 bound_ctrl:0 
	;;#ASMEND
	s_nop 0
	;;#ASMSTART
	v_add_f32 v24, v26, v24 row_shl:2 bound_ctrl:0 
	;;#ASMEND
	;;#ASMSTART
	v_add_f32 v8, v10, v8 row_shl:2 bound_ctrl:0 
	;;#ASMEND
	;;#ASMSTART
	v_add_f32 v16, v18, v16 row_shl:2 bound_ctrl:0 
	;;#ASMEND
	;;#ASMSTART
	v_add_f32 v0, v2, v0 row_shl:2 bound_ctrl:0 
	;;#ASMEND
	s_nop 0
	;;#ASMSTART
	v_add_f32 v24, v27, v24 row_shl:3 bound_ctrl:0 
	;;#ASMEND
	;;#ASMSTART
	v_add_f32 v8, v11, v8 row_shl:3 bound_ctrl:0 
	;;#ASMEND
	;;#ASMSTART
	v_add_f32 v16, v19, v16 row_shl:3 bound_ctrl:0 
	;;#ASMEND
	;;#ASMSTART
	v_add_f32 v0, v3, v0 row_shl:3 bound_ctrl:0 
	;;#ASMEND
	s_nop 0
	;;#ASMSTART
	v_add_f32 v24, v28, v24 row_shl:8 bound_ctrl:0 
	;;#ASMEND
	;;#ASMSTART
	v_add_f32 v8, v12, v8 row_shl:8 bound_ctrl:0 
	;;#ASMEND
	;;#ASMSTART
	v_add_f32 v16, v20, v16 row_shl:8 bound_ctrl:0 
	;;#ASMEND
	;;#ASMSTART
	v_add_f32 v0, v4, v0 row_shl:8 bound_ctrl:0 
	;;#ASMEND
	s_nop 0
	;;#ASMSTART
	v_add_f32 v24, v29, v24 row_shl:9 bound_ctrl:0 
	;;#ASMEND
	;;#ASMSTART
	v_add_f32 v8, v13, v8 row_shl:9 bound_ctrl:0 
	;;#ASMEND
	;;#ASMSTART
	v_add_f32 v16, v21, v16 row_shl:9 bound_ctrl:0 
	;;#ASMEND
	;;#ASMSTART
	v_add_f32 v0, v5, v0 row_shl:9 bound_ctrl:0 
	;;#ASMEND
	s_nop 0
	;;#ASMSTART
	v_add_f32 v24, v30, v24 row_shl:10 bound_ctrl:0 
	;;#ASMEND
	;;#ASMSTART
	v_add_f32 v8, v14, v8 row_shl:10 bound_ctrl:0 
	;;#ASMEND
	;;#ASMSTART
	v_add_f32 v16, v22, v16 row_shl:10 bound_ctrl:0 
	;;#ASMEND
	;;#ASMSTART
	v_add_f32 v0, v6, v0 row_shl:10 bound_ctrl:0 
	;;#ASMEND
	s_nop 0
	;;#ASMSTART
	v_add_f32 v24, v31, v24 row_shl:11 bound_ctrl:0 
	;;#ASMEND
	ds_bpermute_b32 v18, v61, v24 offset:208
	;;#ASMSTART
	v_add_f32 v8, v15, v8 row_shl:11 bound_ctrl:0 
	;;#ASMEND
	ds_bpermute_b32 v2, v61, v8 offset:208
	;; [unrolled: 4-line block ×3, first 2 shown]
	s_waitcnt lgkmcnt(0)
	v_add_f32_e32 v18, v24, v18
	ds_bpermute_b32 v18, v61, v18 offset:64
	v_add_f32_e32 v2, v8, v2
	;;#ASMSTART
	v_add_f32 v0, v7, v0 row_shl:11 bound_ctrl:0 
	;;#ASMEND
	ds_bpermute_b32 v1, v61, v0 offset:144
	ds_bpermute_b32 v4, v61, v2 offset:64
	s_and_saveexec_b64 s[4:5], s[0:1]
	s_cbranch_execz .LBB49_7
; %bb.35:                               ;   in Loop: Header=BB49_8 Depth=1
	v_add_f32_e32 v2, v16, v17
	s_waitcnt lgkmcnt(2)
	v_add_f32_e32 v2, v2, v18
	v_mul_f32_e32 v2, s15, v2
	v_mul_f32_e32 v2, s28, v2
	v_and_b32_e32 v3, 0x7f800000, v2
	v_cmp_ne_u32_e32 vcc, s31, v3
                                        ; implicit-def: $vgpr5
	s_and_saveexec_b64 s[6:7], vcc
	s_xor_b64 s[6:7], exec, s[6:7]
; %bb.36:                               ;   in Loop: Header=BB49_8 Depth=1
	v_bfe_u32 v3, v2, 16, 1
	v_add3_u32 v5, v2, v3, s33
                                        ; implicit-def: $vgpr2
; %bb.37:                               ;   in Loop: Header=BB49_8 Depth=1
	s_andn2_saveexec_b64 s[6:7], s[6:7]
; %bb.38:                               ;   in Loop: Header=BB49_8 Depth=1
	v_or_b32_e32 v3, 0x10000, v2
	v_cmp_eq_u32_sdwa vcc, v2, v59 src0_sel:WORD_0 src1_sel:DWORD
	s_nop 1
	v_cndmask_b32_e32 v5, v3, v2, vcc
; %bb.39:                               ;   in Loop: Header=BB49_8 Depth=1
	s_or_b64 exec, exec, s[6:7]
	v_mov_b32_e32 v57, v59
	v_lshl_add_u64 v[2:3], v[56:57], 1, s[18:19]
	v_cmp_gt_u32_e32 vcc, s14, v62
	global_store_short_d16_hi v[2:3], v5, off
	s_and_b64 exec, exec, vcc
	s_cbranch_execz .LBB49_7
; %bb.40:                               ;   in Loop: Header=BB49_8 Depth=1
	s_waitcnt lgkmcnt(1)
	v_add_f32_e32 v0, v0, v1
	s_waitcnt lgkmcnt(0)
	v_add_f32_e32 v0, v0, v4
	v_mul_f32_e32 v0, s15, v0
	v_mul_f32_e32 v0, s28, v0
	v_and_b32_e32 v1, 0x7f800000, v0
	v_cmp_ne_u32_e32 vcc, s31, v1
                                        ; implicit-def: $vgpr1
	s_and_saveexec_b64 s[6:7], vcc
	s_xor_b64 s[6:7], exec, s[6:7]
; %bb.41:                               ;   in Loop: Header=BB49_8 Depth=1
	v_bfe_u32 v1, v0, 16, 1
	v_add3_u32 v1, v0, v1, s33
                                        ; implicit-def: $vgpr0
; %bb.42:                               ;   in Loop: Header=BB49_8 Depth=1
	s_andn2_saveexec_b64 s[6:7], s[6:7]
	s_cbranch_execz .LBB49_6
; %bb.43:                               ;   in Loop: Header=BB49_8 Depth=1
	v_or_b32_e32 v1, 0x10000, v0
	v_cmp_eq_u32_sdwa vcc, v0, v59 src0_sel:WORD_0 src1_sel:DWORD
	s_nop 1
	v_cndmask_b32_e32 v1, v1, v0, vcc
	s_branch .LBB49_6
.LBB49_44:
	s_endpgm
	.section	.rodata,"a",@progbits
	.p2align	6, 0x0
	.amdhsa_kernel _Z13wvSplitKQ_hf_I14__hip_bfloat16N3c1013Float8_e4m3fnELi64ELi2ELi16ELi16ELi2ELi1EEviiiPKT0_S5_PT_PKfS9_ii
		.amdhsa_group_segment_fixed_size 65536
		.amdhsa_private_segment_fixed_size 0
		.amdhsa_kernarg_size 64
		.amdhsa_user_sgpr_count 2
		.amdhsa_user_sgpr_dispatch_ptr 0
		.amdhsa_user_sgpr_queue_ptr 0
		.amdhsa_user_sgpr_kernarg_segment_ptr 1
		.amdhsa_user_sgpr_dispatch_id 0
		.amdhsa_user_sgpr_kernarg_preload_length 0
		.amdhsa_user_sgpr_kernarg_preload_offset 0
		.amdhsa_user_sgpr_private_segment_size 0
		.amdhsa_uses_dynamic_stack 0
		.amdhsa_enable_private_segment 0
		.amdhsa_system_sgpr_workgroup_id_x 1
		.amdhsa_system_sgpr_workgroup_id_y 0
		.amdhsa_system_sgpr_workgroup_id_z 0
		.amdhsa_system_sgpr_workgroup_info 0
		.amdhsa_system_vgpr_workitem_id 1
		.amdhsa_next_free_vgpr 65
		.amdhsa_next_free_sgpr 35
		.amdhsa_accum_offset 68
		.amdhsa_reserve_vcc 1
		.amdhsa_float_round_mode_32 0
		.amdhsa_float_round_mode_16_64 0
		.amdhsa_float_denorm_mode_32 3
		.amdhsa_float_denorm_mode_16_64 3
		.amdhsa_dx10_clamp 1
		.amdhsa_ieee_mode 1
		.amdhsa_fp16_overflow 0
		.amdhsa_tg_split 0
		.amdhsa_exception_fp_ieee_invalid_op 0
		.amdhsa_exception_fp_denorm_src 0
		.amdhsa_exception_fp_ieee_div_zero 0
		.amdhsa_exception_fp_ieee_overflow 0
		.amdhsa_exception_fp_ieee_underflow 0
		.amdhsa_exception_fp_ieee_inexact 0
		.amdhsa_exception_int_div_zero 0
	.end_amdhsa_kernel
	.section	.text._Z13wvSplitKQ_hf_I14__hip_bfloat16N3c1013Float8_e4m3fnELi64ELi2ELi16ELi16ELi2ELi1EEviiiPKT0_S5_PT_PKfS9_ii,"axG",@progbits,_Z13wvSplitKQ_hf_I14__hip_bfloat16N3c1013Float8_e4m3fnELi64ELi2ELi16ELi16ELi2ELi1EEviiiPKT0_S5_PT_PKfS9_ii,comdat
.Lfunc_end49:
	.size	_Z13wvSplitKQ_hf_I14__hip_bfloat16N3c1013Float8_e4m3fnELi64ELi2ELi16ELi16ELi2ELi1EEviiiPKT0_S5_PT_PKfS9_ii, .Lfunc_end49-_Z13wvSplitKQ_hf_I14__hip_bfloat16N3c1013Float8_e4m3fnELi64ELi2ELi16ELi16ELi2ELi1EEviiiPKT0_S5_PT_PKfS9_ii
                                        ; -- End function
	.section	.AMDGPU.csdata,"",@progbits
; Kernel info:
; codeLenInByte = 1608
; NumSgprs: 41
; NumVgprs: 65
; NumAgprs: 0
; TotalNumVgprs: 65
; ScratchSize: 0
; MemoryBound: 1
; FloatMode: 240
; IeeeMode: 1
; LDSByteSize: 65536 bytes/workgroup (compile time only)
; SGPRBlocks: 5
; VGPRBlocks: 8
; NumSGPRsForWavesPerEU: 41
; NumVGPRsForWavesPerEU: 65
; AccumOffset: 68
; Occupancy: 4
; WaveLimiterHint : 0
; COMPUTE_PGM_RSRC2:SCRATCH_EN: 0
; COMPUTE_PGM_RSRC2:USER_SGPR: 2
; COMPUTE_PGM_RSRC2:TRAP_HANDLER: 0
; COMPUTE_PGM_RSRC2:TGID_X_EN: 1
; COMPUTE_PGM_RSRC2:TGID_Y_EN: 0
; COMPUTE_PGM_RSRC2:TGID_Z_EN: 0
; COMPUTE_PGM_RSRC2:TIDIG_COMP_CNT: 1
; COMPUTE_PGM_RSRC3_GFX90A:ACCUM_OFFSET: 16
; COMPUTE_PGM_RSRC3_GFX90A:TG_SPLIT: 0
	.section	.text._Z17wvSplitKQ_hf_sml_I14__hip_bfloat16N3c1013Float8_e4m3fnELi64ELi2ELi16ELi16ELi2ELi2EEviiiPKT0_S5_PT_PKfS9_ii,"axG",@progbits,_Z17wvSplitKQ_hf_sml_I14__hip_bfloat16N3c1013Float8_e4m3fnELi64ELi2ELi16ELi16ELi2ELi2EEviiiPKT0_S5_PT_PKfS9_ii,comdat
	.protected	_Z17wvSplitKQ_hf_sml_I14__hip_bfloat16N3c1013Float8_e4m3fnELi64ELi2ELi16ELi16ELi2ELi2EEviiiPKT0_S5_PT_PKfS9_ii ; -- Begin function _Z17wvSplitKQ_hf_sml_I14__hip_bfloat16N3c1013Float8_e4m3fnELi64ELi2ELi16ELi16ELi2ELi2EEviiiPKT0_S5_PT_PKfS9_ii
	.globl	_Z17wvSplitKQ_hf_sml_I14__hip_bfloat16N3c1013Float8_e4m3fnELi64ELi2ELi16ELi16ELi2ELi2EEviiiPKT0_S5_PT_PKfS9_ii
	.p2align	8
	.type	_Z17wvSplitKQ_hf_sml_I14__hip_bfloat16N3c1013Float8_e4m3fnELi64ELi2ELi16ELi16ELi2ELi2EEviiiPKT0_S5_PT_PKfS9_ii,@function
_Z17wvSplitKQ_hf_sml_I14__hip_bfloat16N3c1013Float8_e4m3fnELi64ELi2ELi16ELi16ELi2ELi2EEviiiPKT0_S5_PT_PKfS9_ii: ; @_Z17wvSplitKQ_hf_sml_I14__hip_bfloat16N3c1013Float8_e4m3fnELi64ELi2ELi16ELi16ELi2ELi2EEviiiPKT0_S5_PT_PKfS9_ii
; %bb.0:
	s_load_dwordx4 s[8:11], s[0:1], 0x0
	s_load_dwordx4 s[4:7], s[0:1], 0x28
	v_bfe_u32 v1, v0, 10, 10
	v_and_b32_e32 v0, 0x3ff, v0
	v_lshlrev_b32_e32 v100, 4, v0
	s_waitcnt lgkmcnt(0)
	s_lshl_b32 s3, s8, 1
	v_lshl_add_u32 v2, v1, 10, v100
	s_min_i32 s3, s3, 0x10000
	v_cmp_gt_u32_e32 vcc, s3, v2
	s_and_saveexec_b64 s[12:13], vcc
	s_cbranch_execz .LBB50_3
; %bb.1:
	s_load_dwordx2 s[14:15], s[0:1], 0x18
	s_mov_b64 s[16:17], 0
.LBB50_2:                               ; =>This Inner Loop Header: Depth=1
	s_waitcnt lgkmcnt(0)
	global_load_dwordx4 v[4:7], v2, s[14:15]
	s_waitcnt vmcnt(0)
	ds_write_b128 v2, v[4:7]
	v_add_u32_e32 v2, 0x4000, v2
	v_cmp_le_u32_e32 vcc, s3, v2
	s_or_b64 s[16:17], vcc, s[16:17]
	s_andn2_b64 exec, exec, s[16:17]
	s_cbranch_execnz .LBB50_2
.LBB50_3:
	s_or_b64 exec, exec, s[12:13]
	s_load_dwordx2 s[16:17], s[0:1], 0x38
	s_waitcnt lgkmcnt(0)
	s_barrier
	v_cmp_gt_u32_e32 vcc, s16, v1
	s_and_saveexec_b64 s[12:13], vcc
	s_cbranch_execz .LBB50_39
; %bb.4:
	s_mul_i32 s2, s2, s16
	v_add_u32_e32 v1, s2, v1
	v_lshlrev_b32_e32 v96, 1, v1
	v_cmp_gt_u32_e32 vcc, s10, v96
	s_and_b64 exec, exec, vcc
	s_cbranch_execz .LBB50_39
; %bb.5:
	s_load_dword s11, s[4:5], 0x0
	s_load_dword s22, s[6:7], 0x0
	s_load_dwordx2 s[12:13], s[0:1], 0x10
	s_load_dwordx2 s[14:15], s[0:1], 0x20
	s_cmp_lg_u32 s8, 0
	v_cmp_eq_u32_e64 s[0:1], 0, v0
	s_cselect_b64 s[2:3], -1, 0
	v_mul_lo_u32 v0, s9, v1
	v_lshl_add_u32 v102, v0, 1, v100
	v_cndmask_b32_e64 v0, 0, 1, s[2:3]
	v_cmp_ne_u32_e64 s[2:3], 1, v0
	v_mbcnt_lo_u32_b32 v0, -1, 0
	s_mul_i32 s4, s16, s17
	v_mbcnt_hi_u32_b32 v0, -1, v0
	s_lshl_b32 s23, s4, 1
	s_mul_i32 s4, s4, s9
	v_lshlrev_b32_e32 v0, 2, v0
	s_mov_b32 s7, 0
	s_mov_b32 s6, s9
	v_add_u32_e32 v101, s8, v100
	s_lshl_b32 s9, s4, 1
	s_mov_b64 s[16:17], 0
	v_mov_b32_e32 v99, 0
	v_and_b32_e32 v103, 0x100, v0
	s_mov_b32 s24, 0x7f800000
	s_movk_i32 s25, 0x7fff
	s_branch .LBB50_8
.LBB50_6:                               ;   in Loop: Header=BB50_8 Depth=1
	s_or_b64 exec, exec, s[18:19]
	v_add_u32_e32 v98, 1, v98
	v_lshl_add_u64 v[2:3], v[98:99], 1, s[14:15]
	global_store_short_d16_hi v[2:3], v0, off
.LBB50_7:                               ;   in Loop: Header=BB50_8 Depth=1
	s_or_b64 exec, exec, s[4:5]
	v_add_u32_e32 v96, s23, v96
	v_cmp_le_u32_e32 vcc, s10, v96
	s_or_b64 s[16:17], vcc, s[16:17]
	v_add_u32_e32 v102, s9, v102
	s_andn2_b64 exec, exec, s[16:17]
	s_cbranch_execz .LBB50_39
.LBB50_8:                               ; =>This Loop Header: Depth=1
                                        ;     Child Loop BB50_10 Depth 2
	s_and_b64 vcc, exec, s[2:3]
	v_mov_b32_e32 v63, v99
	v_mov_b32_e32 v62, v99
	;; [unrolled: 1-line block ×13, first 2 shown]
	s_waitcnt lgkmcnt(0)
	v_mov_b32_e32 v50, v99
	v_mov_b32_e32 v49, v99
	;; [unrolled: 1-line block ×51, first 2 shown]
	s_cbranch_vccnz .LBB50_22
; %bb.9:                                ;   in Loop: Header=BB50_8 Depth=1
	v_mov_b32_e32 v0, 0
	s_movk_i32 s26, 0x400
	v_mov_b32_e32 v1, v0
	v_mov_b32_e32 v2, v0
	;; [unrolled: 1-line block ×63, first 2 shown]
.LBB50_10:                              ;   Parent Loop BB50_8 Depth=1
                                        ; =>  This Inner Loop Header: Depth=2
	v_add_u32_e32 v97, s26, v100
	v_add_u32_e32 v104, 0xfffffc00, v97
	v_mov_b64_e32 v[64:65], 0
	v_cmp_gt_u32_e32 vcc, s8, v104
	v_mov_b64_e32 v[68:69], v[64:65]
	v_mov_b64_e32 v[70:71], v[64:65]
	;; [unrolled: 1-line block ×8, first 2 shown]
	s_and_saveexec_b64 s[18:19], vcc
	s_cbranch_execz .LBB50_14
; %bb.11:                               ;   in Loop: Header=BB50_10 Depth=2
	v_add_u32_e32 v66, s26, v102
	v_add_u32_e32 v98, 0xfffffc00, v66
	s_waitcnt lgkmcnt(0)
	v_lshl_add_u64 v[68:69], s[12:13], 0, v[98:99]
	v_lshl_add_u64 v[68:69], v[68:69], 0, s[6:7]
	global_load_dwordx4 v[80:83], v98, s[12:13] nt
	global_load_dwordx4 v[76:79], v[68:69], off nt
	v_mov_b64_e32 v[74:75], 0
	v_cmp_gt_u32_e64 s[4:5], s8, v97
	v_mov_b64_e32 v[72:73], v[74:75]
	v_mov_b64_e32 v[70:71], v[74:75]
	;; [unrolled: 1-line block ×3, first 2 shown]
	s_and_saveexec_b64 s[20:21], s[4:5]
	s_cbranch_execz .LBB50_13
; %bb.12:                               ;   in Loop: Header=BB50_10 Depth=2
	v_mov_b32_e32 v67, v99
	v_lshl_add_u64 v[68:69], s[12:13], 0, v[66:67]
	v_lshl_add_u64 v[68:69], v[68:69], 0, s[6:7]
	global_load_dwordx4 v[72:75], v66, s[12:13] nt
	s_nop 0
	global_load_dwordx4 v[68:71], v[68:69], off nt
.LBB50_13:                              ;   in Loop: Header=BB50_10 Depth=2
	s_or_b64 exec, exec, s[20:21]
.LBB50_14:                              ;   in Loop: Header=BB50_10 Depth=2
	s_or_b64 exec, exec, s[18:19]
	v_mov_b64_e32 v[66:67], v[64:65]
	v_mov_b64_e32 v[88:89], v[64:65]
	;; [unrolled: 1-line block ×7, first 2 shown]
	s_and_saveexec_b64 s[4:5], vcc
	s_cbranch_execz .LBB50_18
; %bb.15:                               ;   in Loop: Header=BB50_10 Depth=2
	v_add_u32_e32 v98, s26, v101
	v_add_u32_e32 v64, 0xfffffc00, v98
	ds_read_b128 v[92:95], v104
	ds_read_b128 v[88:91], v64
	v_mov_b64_e32 v[86:87], 0
	v_cmp_gt_u32_e32 vcc, s8, v97
	v_mov_b64_e32 v[84:85], v[86:87]
	v_mov_b64_e32 v[66:67], v[86:87]
	;; [unrolled: 1-line block ×3, first 2 shown]
	s_and_saveexec_b64 s[18:19], vcc
	s_cbranch_execz .LBB50_17
; %bb.16:                               ;   in Loop: Header=BB50_10 Depth=2
	ds_read_b128 v[84:87], v97
	ds_read_b128 v[64:67], v98
.LBB50_17:                              ;   in Loop: Header=BB50_10 Depth=2
	s_or_b64 exec, exec, s[18:19]
.LBB50_18:                              ;   in Loop: Header=BB50_10 Depth=2
	s_or_b64 exec, exec, s[4:5]
	s_waitcnt vmcnt(1) lgkmcnt(0)
	v_mfma_f32_32x32x16_fp8_fp8 v[48:63], v[92:93], v[80:81], v[48:63]
	s_cmp_ge_u32 s26, s8
	s_waitcnt vmcnt(0)
	v_mfma_f32_32x32x16_fp8_fp8 v[32:47], v[92:93], v[76:77], v[32:47]
	v_mfma_f32_32x32x16_fp8_fp8 v[16:31], v[88:89], v[80:81], v[16:31]
	;; [unrolled: 1-line block ×7, first 2 shown]
	s_cbranch_scc1 .LBB50_20
; %bb.19:                               ;   in Loop: Header=BB50_10 Depth=2
	v_mfma_f32_32x32x16_fp8_fp8 v[48:63], v[84:85], v[72:73], v[48:63]
	v_mfma_f32_32x32x16_fp8_fp8 v[32:47], v[84:85], v[68:69], v[32:47]
	;; [unrolled: 1-line block ×8, first 2 shown]
.LBB50_20:                              ;   in Loop: Header=BB50_10 Depth=2
	s_add_i32 s4, s26, 0x800
	s_add_i32 s5, s26, 0x400
	s_cmp_ge_u32 s5, s8
	s_cbranch_scc1 .LBB50_22
; %bb.21:                               ;   in Loop: Header=BB50_10 Depth=2
	s_mov_b32 s26, s4
	s_branch .LBB50_10
.LBB50_22:                              ;   in Loop: Header=BB50_8 Depth=1
	;;#ASMSTART
	v_add_f32 v56, v57, v56 row_shl:1 bound_ctrl:0 
	;;#ASMEND
	;;#ASMSTART
	v_add_f32 v40, v41, v40 row_shl:1 bound_ctrl:0 
	;;#ASMEND
	;;#ASMSTART
	v_add_f32 v24, v25, v24 row_shl:1 bound_ctrl:0 
	;;#ASMEND
	;;#ASMSTART
	v_add_f32 v8, v9, v8 row_shl:1 bound_ctrl:0 
	;;#ASMEND
	;;#ASMSTART
	v_add_f32 v48, v49, v48 row_shl:1 bound_ctrl:0 
	;;#ASMEND
	;;#ASMSTART
	v_add_f32 v32, v33, v32 row_shl:1 bound_ctrl:0 
	;;#ASMEND
	s_nop 0
	;;#ASMSTART
	v_add_f32 v56, v58, v56 row_shl:2 bound_ctrl:0 
	;;#ASMEND
	;;#ASMSTART
	v_add_f32 v40, v42, v40 row_shl:2 bound_ctrl:0 
	;;#ASMEND
	;;#ASMSTART
	v_add_f32 v24, v26, v24 row_shl:2 bound_ctrl:0 
	;;#ASMEND
	;;#ASMSTART
	v_add_f32 v8, v10, v8 row_shl:2 bound_ctrl:0 
	;;#ASMEND
	;;#ASMSTART
	v_add_f32 v16, v17, v16 row_shl:1 bound_ctrl:0 
	;;#ASMEND
	;;#ASMSTART
	v_add_f32 v0, v1, v0 row_shl:1 bound_ctrl:0 
	;;#ASMEND
	s_nop 0
	;; [unrolled: 19-line block ×6, first 2 shown]
	;;#ASMSTART
	v_add_f32 v56, v63, v56 row_shl:11 bound_ctrl:0 
	;;#ASMEND
	ds_bpermute_b32 v50, v103, v56 offset:208
	;;#ASMSTART
	v_add_f32 v40, v47, v40 row_shl:11 bound_ctrl:0 
	;;#ASMEND
	ds_bpermute_b32 v34, v103, v40 offset:208
	;; [unrolled: 4-line block ×4, first 2 shown]
	;;#ASMSTART
	v_add_f32 v48, v52, v48 row_shl:8 bound_ctrl:0 
	;;#ASMEND
	;;#ASMSTART
	v_add_f32 v32, v36, v32 row_shl:8 bound_ctrl:0 
	;;#ASMEND
	;; [unrolled: 3-line block ×4, first 2 shown]
	s_waitcnt lgkmcnt(0)
	v_add_f32_e32 v50, v56, v50
	;;#ASMSTART
	v_add_f32 v48, v53, v48 row_shl:9 bound_ctrl:0 
	;;#ASMEND
	;;#ASMSTART
	v_add_f32 v32, v37, v32 row_shl:9 bound_ctrl:0 
	;;#ASMEND
	;; [unrolled: 3-line block ×4, first 2 shown]
	v_add_f32_e32 v34, v40, v34
	;;#ASMSTART
	v_add_f32 v48, v54, v48 row_shl:10 bound_ctrl:0 
	;;#ASMEND
	;;#ASMSTART
	v_add_f32 v32, v38, v32 row_shl:10 bound_ctrl:0 
	;;#ASMEND
	;; [unrolled: 3-line block ×3, first 2 shown]
	v_add_f32_e32 v18, v24, v18
	;;#ASMSTART
	v_add_f32 v0, v6, v0 row_shl:10 bound_ctrl:0 
	;;#ASMEND
	v_add_f32_e32 v2, v8, v2
	;;#ASMSTART
	v_add_f32 v48, v55, v48 row_shl:11 bound_ctrl:0 
	;;#ASMEND
	ds_bpermute_b32 v49, v103, v48 offset:144
	ds_bpermute_b32 v50, v103, v50 offset:64
	;;#ASMSTART
	v_add_f32 v32, v39, v32 row_shl:11 bound_ctrl:0 
	;;#ASMEND
	ds_bpermute_b32 v33, v103, v32 offset:144
	ds_bpermute_b32 v34, v103, v34 offset:64
	;; [unrolled: 5-line block ×4, first 2 shown]
	s_and_saveexec_b64 s[4:5], s[0:1]
	s_cbranch_execz .LBB50_7
; %bb.23:                               ;   in Loop: Header=BB50_8 Depth=1
	s_waitcnt lgkmcnt(7)
	v_add_f32_e32 v2, v48, v49
	s_waitcnt lgkmcnt(6)
	v_add_f32_e32 v2, v2, v50
	v_mul_f32_e32 v2, s11, v2
	v_mul_f32_e32 v2, s22, v2
	v_and_b32_e32 v3, 0x7f800000, v2
	v_cmp_ne_u32_e32 vcc, s24, v3
                                        ; implicit-def: $vgpr5
	s_and_saveexec_b64 s[18:19], vcc
	s_xor_b64 s[18:19], exec, s[18:19]
; %bb.24:                               ;   in Loop: Header=BB50_8 Depth=1
	v_bfe_u32 v3, v2, 16, 1
	v_add3_u32 v5, v2, v3, s25
                                        ; implicit-def: $vgpr2
; %bb.25:                               ;   in Loop: Header=BB50_8 Depth=1
	s_andn2_saveexec_b64 s[18:19], s[18:19]
; %bb.26:                               ;   in Loop: Header=BB50_8 Depth=1
	v_or_b32_e32 v3, 0x10000, v2
	v_cmp_eq_u32_sdwa vcc, v2, v99 src0_sel:WORD_0 src1_sel:DWORD
	s_nop 1
	v_cndmask_b32_e32 v5, v3, v2, vcc
; %bb.27:                               ;   in Loop: Header=BB50_8 Depth=1
	s_or_b64 exec, exec, s[18:19]
	s_waitcnt lgkmcnt(5)
	v_add_f32_e32 v2, v32, v33
	v_mov_b32_e32 v97, v99
	s_waitcnt lgkmcnt(4)
	v_add_f32_e32 v6, v2, v34
	v_lshl_add_u64 v[2:3], v[96:97], 1, s[14:15]
	global_store_short_d16_hi v[2:3], v5, off
	v_mul_f32_e32 v5, s11, v6
	v_mul_f32_e32 v5, s22, v5
	v_and_b32_e32 v6, 0x7f800000, v5
	v_cmp_ne_u32_e32 vcc, s24, v6
                                        ; implicit-def: $vgpr6
	s_and_saveexec_b64 s[18:19], vcc
	s_xor_b64 s[18:19], exec, s[18:19]
; %bb.28:                               ;   in Loop: Header=BB50_8 Depth=1
	v_bfe_u32 v6, v5, 16, 1
	v_add3_u32 v6, v5, v6, s25
                                        ; implicit-def: $vgpr5
; %bb.29:                               ;   in Loop: Header=BB50_8 Depth=1
	s_andn2_saveexec_b64 s[18:19], s[18:19]
; %bb.30:                               ;   in Loop: Header=BB50_8 Depth=1
	v_or_b32_e32 v6, 0x10000, v5
	v_cmp_eq_u32_sdwa vcc, v5, v99 src0_sel:WORD_0 src1_sel:DWORD
	s_nop 1
	v_cndmask_b32_e32 v6, v6, v5, vcc
; %bb.31:                               ;   in Loop: Header=BB50_8 Depth=1
	s_or_b64 exec, exec, s[18:19]
	s_waitcnt lgkmcnt(3)
	v_add_f32_e32 v5, v16, v17
	s_waitcnt lgkmcnt(2)
	v_add_f32_e32 v5, v5, v18
	global_store_short_d16_hi v[2:3], v6, off offset:2
	v_mul_f32_e32 v2, s11, v5
	v_mul_f32_e32 v3, s22, v2
	v_and_b32_e32 v2, 0x7f800000, v3
	v_cmp_ne_u32_e32 vcc, s24, v2
                                        ; implicit-def: $vgpr2
	s_and_saveexec_b64 s[18:19], vcc
	s_xor_b64 s[18:19], exec, s[18:19]
; %bb.32:                               ;   in Loop: Header=BB50_8 Depth=1
	v_bfe_u32 v2, v3, 16, 1
	v_add3_u32 v2, v3, v2, s25
                                        ; implicit-def: $vgpr3
; %bb.33:                               ;   in Loop: Header=BB50_8 Depth=1
	s_andn2_saveexec_b64 s[18:19], s[18:19]
; %bb.34:                               ;   in Loop: Header=BB50_8 Depth=1
	v_or_b32_e32 v2, 0x10000, v3
	v_cmp_eq_u32_sdwa vcc, v3, v99 src0_sel:WORD_0 src1_sel:DWORD
	s_nop 1
	v_cndmask_b32_e32 v2, v2, v3, vcc
; %bb.35:                               ;   in Loop: Header=BB50_8 Depth=1
	s_or_b64 exec, exec, s[18:19]
	v_add_u32_e32 v98, s10, v96
	s_waitcnt lgkmcnt(1)
	v_add_f32_e32 v0, v0, v1
	s_waitcnt lgkmcnt(0)
	v_add_f32_e32 v3, v0, v4
	v_lshl_add_u64 v[0:1], v[98:99], 1, s[14:15]
	global_store_short_d16_hi v[0:1], v2, off
	v_mul_f32_e32 v0, s11, v3
	v_mul_f32_e32 v1, s22, v0
	v_and_b32_e32 v0, 0x7f800000, v1
	v_cmp_ne_u32_e32 vcc, s24, v0
                                        ; implicit-def: $vgpr0
	s_and_saveexec_b64 s[18:19], vcc
	s_xor_b64 s[18:19], exec, s[18:19]
; %bb.36:                               ;   in Loop: Header=BB50_8 Depth=1
	v_bfe_u32 v0, v1, 16, 1
	v_add3_u32 v0, v1, v0, s25
                                        ; implicit-def: $vgpr1
; %bb.37:                               ;   in Loop: Header=BB50_8 Depth=1
	s_andn2_saveexec_b64 s[18:19], s[18:19]
	s_cbranch_execz .LBB50_6
; %bb.38:                               ;   in Loop: Header=BB50_8 Depth=1
	v_or_b32_e32 v0, 0x10000, v1
	v_cmp_eq_u32_sdwa vcc, v1, v99 src0_sel:WORD_0 src1_sel:DWORD
	s_nop 1
	v_cndmask_b32_e32 v0, v0, v1, vcc
	s_branch .LBB50_6
.LBB50_39:
	s_endpgm
	.section	.rodata,"a",@progbits
	.p2align	6, 0x0
	.amdhsa_kernel _Z17wvSplitKQ_hf_sml_I14__hip_bfloat16N3c1013Float8_e4m3fnELi64ELi2ELi16ELi16ELi2ELi2EEviiiPKT0_S5_PT_PKfS9_ii
		.amdhsa_group_segment_fixed_size 65536
		.amdhsa_private_segment_fixed_size 0
		.amdhsa_kernarg_size 64
		.amdhsa_user_sgpr_count 2
		.amdhsa_user_sgpr_dispatch_ptr 0
		.amdhsa_user_sgpr_queue_ptr 0
		.amdhsa_user_sgpr_kernarg_segment_ptr 1
		.amdhsa_user_sgpr_dispatch_id 0
		.amdhsa_user_sgpr_kernarg_preload_length 0
		.amdhsa_user_sgpr_kernarg_preload_offset 0
		.amdhsa_user_sgpr_private_segment_size 0
		.amdhsa_uses_dynamic_stack 0
		.amdhsa_enable_private_segment 0
		.amdhsa_system_sgpr_workgroup_id_x 1
		.amdhsa_system_sgpr_workgroup_id_y 0
		.amdhsa_system_sgpr_workgroup_id_z 0
		.amdhsa_system_sgpr_workgroup_info 0
		.amdhsa_system_vgpr_workitem_id 1
		.amdhsa_next_free_vgpr 105
		.amdhsa_next_free_sgpr 27
		.amdhsa_accum_offset 108
		.amdhsa_reserve_vcc 1
		.amdhsa_float_round_mode_32 0
		.amdhsa_float_round_mode_16_64 0
		.amdhsa_float_denorm_mode_32 3
		.amdhsa_float_denorm_mode_16_64 3
		.amdhsa_dx10_clamp 1
		.amdhsa_ieee_mode 1
		.amdhsa_fp16_overflow 0
		.amdhsa_tg_split 0
		.amdhsa_exception_fp_ieee_invalid_op 0
		.amdhsa_exception_fp_denorm_src 0
		.amdhsa_exception_fp_ieee_div_zero 0
		.amdhsa_exception_fp_ieee_overflow 0
		.amdhsa_exception_fp_ieee_underflow 0
		.amdhsa_exception_fp_ieee_inexact 0
		.amdhsa_exception_int_div_zero 0
	.end_amdhsa_kernel
	.section	.text._Z17wvSplitKQ_hf_sml_I14__hip_bfloat16N3c1013Float8_e4m3fnELi64ELi2ELi16ELi16ELi2ELi2EEviiiPKT0_S5_PT_PKfS9_ii,"axG",@progbits,_Z17wvSplitKQ_hf_sml_I14__hip_bfloat16N3c1013Float8_e4m3fnELi64ELi2ELi16ELi16ELi2ELi2EEviiiPKT0_S5_PT_PKfS9_ii,comdat
.Lfunc_end50:
	.size	_Z17wvSplitKQ_hf_sml_I14__hip_bfloat16N3c1013Float8_e4m3fnELi64ELi2ELi16ELi16ELi2ELi2EEviiiPKT0_S5_PT_PKfS9_ii, .Lfunc_end50-_Z17wvSplitKQ_hf_sml_I14__hip_bfloat16N3c1013Float8_e4m3fnELi64ELi2ELi16ELi16ELi2ELi2EEviiiPKT0_S5_PT_PKfS9_ii
                                        ; -- End function
	.section	.AMDGPU.csdata,"",@progbits
; Kernel info:
; codeLenInByte = 2428
; NumSgprs: 33
; NumVgprs: 105
; NumAgprs: 0
; TotalNumVgprs: 105
; ScratchSize: 0
; MemoryBound: 1
; FloatMode: 240
; IeeeMode: 1
; LDSByteSize: 65536 bytes/workgroup (compile time only)
; SGPRBlocks: 4
; VGPRBlocks: 13
; NumSGPRsForWavesPerEU: 33
; NumVGPRsForWavesPerEU: 105
; AccumOffset: 108
; Occupancy: 4
; WaveLimiterHint : 0
; COMPUTE_PGM_RSRC2:SCRATCH_EN: 0
; COMPUTE_PGM_RSRC2:USER_SGPR: 2
; COMPUTE_PGM_RSRC2:TRAP_HANDLER: 0
; COMPUTE_PGM_RSRC2:TGID_X_EN: 1
; COMPUTE_PGM_RSRC2:TGID_Y_EN: 0
; COMPUTE_PGM_RSRC2:TGID_Z_EN: 0
; COMPUTE_PGM_RSRC2:TIDIG_COMP_CNT: 1
; COMPUTE_PGM_RSRC3_GFX90A:ACCUM_OFFSET: 26
; COMPUTE_PGM_RSRC3_GFX90A:TG_SPLIT: 0
	.section	.text._Z13wvSplitKQ_hf_I14__hip_bfloat16N3c1013Float8_e4m3fnELi64ELi2ELi16ELi16ELi2ELi2EEviiiPKT0_S5_PT_PKfS9_ii,"axG",@progbits,_Z13wvSplitKQ_hf_I14__hip_bfloat16N3c1013Float8_e4m3fnELi64ELi2ELi16ELi16ELi2ELi2EEviiiPKT0_S5_PT_PKfS9_ii,comdat
	.protected	_Z13wvSplitKQ_hf_I14__hip_bfloat16N3c1013Float8_e4m3fnELi64ELi2ELi16ELi16ELi2ELi2EEviiiPKT0_S5_PT_PKfS9_ii ; -- Begin function _Z13wvSplitKQ_hf_I14__hip_bfloat16N3c1013Float8_e4m3fnELi64ELi2ELi16ELi16ELi2ELi2EEviiiPKT0_S5_PT_PKfS9_ii
	.globl	_Z13wvSplitKQ_hf_I14__hip_bfloat16N3c1013Float8_e4m3fnELi64ELi2ELi16ELi16ELi2ELi2EEviiiPKT0_S5_PT_PKfS9_ii
	.p2align	8
	.type	_Z13wvSplitKQ_hf_I14__hip_bfloat16N3c1013Float8_e4m3fnELi64ELi2ELi16ELi16ELi2ELi2EEviiiPKT0_S5_PT_PKfS9_ii,@function
_Z13wvSplitKQ_hf_I14__hip_bfloat16N3c1013Float8_e4m3fnELi64ELi2ELi16ELi16ELi2ELi2EEviiiPKT0_S5_PT_PKfS9_ii: ; @_Z13wvSplitKQ_hf_I14__hip_bfloat16N3c1013Float8_e4m3fnELi64ELi2ELi16ELi16ELi2ELi2EEviiiPKT0_S5_PT_PKfS9_ii
; %bb.0:
	s_load_dwordx4 s[12:15], s[0:1], 0x0
	s_load_dwordx2 s[10:11], s[0:1], 0x18
	s_load_dwordx4 s[4:7], s[0:1], 0x28
	v_bfe_u32 v1, v0, 10, 10
	v_and_b32_e32 v0, 0x3ff, v0
	v_lshlrev_b32_e32 v100, 4, v0
	s_waitcnt lgkmcnt(0)
	s_lshl_b32 s3, s12, 1
	v_lshl_add_u32 v2, v1, 10, v100
	s_min_i32 s3, s3, 0x10000
	v_cmp_gt_u32_e32 vcc, s3, v2
	s_and_saveexec_b64 s[8:9], vcc
	s_cbranch_execz .LBB51_3
; %bb.1:
	s_mov_b64 s[16:17], 0
.LBB51_2:                               ; =>This Inner Loop Header: Depth=1
	global_load_dwordx4 v[4:7], v2, s[10:11]
	s_waitcnt vmcnt(0)
	ds_write_b128 v2, v[4:7]
	v_add_u32_e32 v2, 0x4000, v2
	v_cmp_le_u32_e32 vcc, s3, v2
	s_or_b64 s[16:17], vcc, s[16:17]
	s_andn2_b64 exec, exec, s[16:17]
	s_cbranch_execnz .LBB51_2
.LBB51_3:
	s_or_b64 exec, exec, s[8:9]
	s_load_dwordx2 s[8:9], s[0:1], 0x38
	s_waitcnt lgkmcnt(0)
	s_barrier
	v_cmp_gt_u32_e32 vcc, s8, v1
	s_and_saveexec_b64 s[16:17], vcc
	s_cbranch_execz .LBB51_62
; %bb.4:
	s_mul_i32 s2, s2, s8
	v_add_u32_e32 v1, s2, v1
	v_lshlrev_b32_e32 v96, 1, v1
	v_cmp_gt_u32_e32 vcc, s14, v96
	s_and_b64 exec, exec, vcc
	s_cbranch_execz .LBB51_62
; %bb.5:
	s_load_dword s15, s[4:5], 0x0
	s_load_dword s28, s[6:7], 0x0
	s_load_dwordx2 s[16:17], s[0:1], 0x10
	s_load_dwordx2 s[18:19], s[0:1], 0x20
	s_cmp_lg_u32 s12, 0
	v_cmp_eq_u32_e64 s[0:1], 0, v0
	s_cselect_b64 s[2:3], -1, 0
	v_mul_lo_u32 v0, s13, v1
	v_lshl_add_u32 v102, v0, 1, v100
	v_cndmask_b32_e64 v0, 0, 1, s[2:3]
	v_cmp_ne_u32_e64 s[2:3], 1, v0
	v_mbcnt_lo_u32_b32 v0, -1, 0
	s_mul_i32 s4, s8, s9
	v_mbcnt_hi_u32_b32 v0, -1, v0
	s_lshl_b32 s29, s4, 1
	s_mul_i32 s4, s4, s13
	v_lshlrev_b32_e32 v0, 2, v0
	s_ashr_i32 s21, s13, 31
	s_mov_b32 s20, s13
	v_add_u32_e32 v101, s12, v100
	s_lshl_b32 s13, s4, 1
	s_mov_b64 s[22:23], 0
	v_mov_b32_e32 v99, 0
	s_mov_b32 s30, 0xffff
	v_and_b32_e32 v103, 0x100, v0
	s_mov_b32 s31, 0x7f800000
	s_movk_i32 s33, 0x7fff
                                        ; implicit-def: $vgpr68_vgpr69_vgpr70_vgpr71
                                        ; implicit-def: $vgpr76_vgpr77_vgpr78_vgpr79
                                        ; implicit-def: $vgpr64_vgpr65_vgpr66_vgpr67
                                        ; implicit-def: $vgpr72_vgpr73_vgpr74_vgpr75
                                        ; implicit-def: $vgpr90_vgpr91
                                        ; implicit-def: $vgpr94_vgpr95
                                        ; implicit-def: $vgpr82_vgpr83
                                        ; implicit-def: $vgpr86_vgpr87
	s_branch .LBB51_8
.LBB51_6:                               ;   in Loop: Header=BB51_8 Depth=1
	s_or_b64 exec, exec, s[4:5]
	v_add_u32_e32 v98, s14, v104
	v_lshl_add_u64 v[2:3], v[98:99], 1, s[18:19]
	global_store_short_d16_hi v[2:3], v0, off
.LBB51_7:                               ;   in Loop: Header=BB51_8 Depth=1
	s_or_b64 exec, exec, s[6:7]
	v_add_u32_e32 v96, s29, v96
	v_cmp_le_u32_e32 vcc, s14, v96
	s_or_b64 s[22:23], vcc, s[22:23]
	v_add_u32_e32 v102, s13, v102
	s_andn2_b64 exec, exec, s[22:23]
	s_cbranch_execz .LBB51_62
.LBB51_8:                               ; =>This Loop Header: Depth=1
                                        ;     Child Loop BB51_12 Depth 2
	v_or_b32_e32 v104, 1, v96
	s_and_b64 vcc, exec, s[2:3]
	v_cmp_gt_u32_e64 s[4:5], s14, v104
	s_cbranch_vccnz .LBB51_41
; %bb.9:                                ;   in Loop: Header=BB51_8 Depth=1
	v_mov_b32_e32 v0, 0
	s_mov_b32 s34, 0
	s_waitcnt lgkmcnt(0)
	v_mov_b32_e32 v1, v0
	v_mov_b32_e32 v2, v0
	;; [unrolled: 1-line block ×63, first 2 shown]
	s_branch .LBB51_12
.LBB51_10:                              ;   in Loop: Header=BB51_12 Depth=2
	s_or_b64 exec, exec, s[8:9]
.LBB51_11:                              ;   in Loop: Header=BB51_12 Depth=2
	s_or_b64 exec, exec, s[6:7]
	s_addk_i32 s34, 0x800
	s_cmp_ge_u32 s34, s12
	s_cbranch_scc1 .LBB51_42
.LBB51_12:                              ;   Parent Loop BB51_8 Depth=1
                                        ; =>  This Inner Loop Header: Depth=2
	v_add_u32_e32 v97, s34, v100
	v_cmp_gt_u32_e32 vcc, s12, v97
	s_and_saveexec_b64 s[24:25], vcc
	s_cbranch_execz .LBB51_38
; %bb.13:                               ;   in Loop: Header=BB51_12 Depth=2
	v_add_u32_e32 v98, s34, v102
	s_waitcnt lgkmcnt(0)
	global_load_dwordx4 v[72:75], v98, s[16:17] nt
	s_and_saveexec_b64 s[6:7], s[4:5]
	s_cbranch_execz .LBB51_15
; %bb.14:                               ;   in Loop: Header=BB51_12 Depth=2
	s_waitcnt vmcnt(1)
	v_lshl_add_u64 v[76:77], s[16:17], 0, v[98:99]
	v_lshl_add_u64 v[76:77], v[76:77], 0, s[20:21]
	global_load_dwordx4 v[76:79], v[76:77], off nt
.LBB51_15:                              ;   in Loop: Header=BB51_12 Depth=2
	s_or_b64 exec, exec, s[6:7]
	v_add_u32_e32 v105, 0x400, v97
	v_cmp_gt_u32_e64 s[6:7], s12, v105
	s_and_saveexec_b64 s[8:9], s[6:7]
	s_cbranch_execz .LBB51_19
; %bb.16:                               ;   in Loop: Header=BB51_12 Depth=2
	v_add_u32_e32 v98, 0x400, v98
	global_load_dwordx4 v[64:67], v98, s[16:17] nt
	s_and_saveexec_b64 s[26:27], s[4:5]
	s_cbranch_execz .LBB51_18
; %bb.17:                               ;   in Loop: Header=BB51_12 Depth=2
	s_waitcnt vmcnt(2)
	v_lshl_add_u64 v[68:69], s[16:17], 0, v[98:99]
	v_lshl_add_u64 v[68:69], v[68:69], 0, s[20:21]
	global_load_dwordx4 v[68:71], v[68:69], off nt
.LBB51_18:                              ;   in Loop: Header=BB51_12 Depth=2
	s_or_b64 exec, exec, s[26:27]
.LBB51_19:                              ;   in Loop: Header=BB51_12 Depth=2
	s_or_b64 exec, exec, s[8:9]
	v_cmp_lt_u32_e64 s[8:9], s30, v97
                                        ; implicit-def: $vgpr84_vgpr85
	s_and_saveexec_b64 s[26:27], s[8:9]
	s_xor_b64 s[8:9], exec, s[26:27]
	s_cbranch_execz .LBB51_21
; %bb.20:                               ;   in Loop: Header=BB51_12 Depth=2
	global_load_dwordx4 v[84:87], v97, s[10:11]
.LBB51_21:                              ;   in Loop: Header=BB51_12 Depth=2
	s_andn2_saveexec_b64 s[8:9], s[8:9]
	s_cbranch_execz .LBB51_23
; %bb.22:                               ;   in Loop: Header=BB51_12 Depth=2
	s_waitcnt vmcnt(0)
	ds_read_b128 v[84:87], v97
.LBB51_23:                              ;   in Loop: Header=BB51_12 Depth=2
	s_or_b64 exec, exec, s[8:9]
	v_add_u32_e32 v98, s34, v101
	v_cmp_lt_u32_e64 s[8:9], s30, v98
                                        ; implicit-def: $vgpr92_vgpr93
	s_and_saveexec_b64 s[26:27], s[8:9]
	s_xor_b64 s[8:9], exec, s[26:27]
	s_cbranch_execnz .LBB51_26
; %bb.24:                               ;   in Loop: Header=BB51_12 Depth=2
	s_andn2_saveexec_b64 s[8:9], s[8:9]
	s_cbranch_execnz .LBB51_27
.LBB51_25:                              ;   in Loop: Header=BB51_12 Depth=2
	s_or_b64 exec, exec, s[8:9]
	s_and_saveexec_b64 s[8:9], s[6:7]
	s_cbranch_execnz .LBB51_28
	s_branch .LBB51_37
.LBB51_26:                              ;   in Loop: Header=BB51_12 Depth=2
	global_load_dwordx4 v[92:95], v98, s[10:11]
	s_andn2_saveexec_b64 s[8:9], s[8:9]
	s_cbranch_execz .LBB51_25
.LBB51_27:                              ;   in Loop: Header=BB51_12 Depth=2
	s_waitcnt vmcnt(0)
	ds_read_b128 v[92:95], v98
	s_or_b64 exec, exec, s[8:9]
	s_and_saveexec_b64 s[8:9], s[6:7]
	s_cbranch_execz .LBB51_37
.LBB51_28:                              ;   in Loop: Header=BB51_12 Depth=2
	v_cmp_lt_u32_e64 s[6:7], s30, v105
                                        ; implicit-def: $vgpr80_vgpr81
	s_and_saveexec_b64 s[26:27], s[6:7]
	s_xor_b64 s[6:7], exec, s[26:27]
	s_cbranch_execz .LBB51_30
; %bb.29:                               ;   in Loop: Header=BB51_12 Depth=2
	global_load_dwordx4 v[80:83], v105, s[10:11]
.LBB51_30:                              ;   in Loop: Header=BB51_12 Depth=2
	s_andn2_saveexec_b64 s[6:7], s[6:7]
	s_cbranch_execz .LBB51_32
; %bb.31:                               ;   in Loop: Header=BB51_12 Depth=2
	s_waitcnt vmcnt(0)
	ds_read_b128 v[80:83], v97 offset:1024
.LBB51_32:                              ;   in Loop: Header=BB51_12 Depth=2
	s_or_b64 exec, exec, s[6:7]
	s_waitcnt vmcnt(1)
	v_add_u32_e32 v90, 0x400, v98
	v_cmp_lt_u32_e64 s[6:7], s30, v90
                                        ; implicit-def: $vgpr88_vgpr89
	s_and_saveexec_b64 s[26:27], s[6:7]
	s_xor_b64 s[6:7], exec, s[26:27]
	s_cbranch_execz .LBB51_34
; %bb.33:                               ;   in Loop: Header=BB51_12 Depth=2
	global_load_dwordx4 v[88:91], v90, s[10:11]
                                        ; implicit-def: $vgpr98
.LBB51_34:                              ;   in Loop: Header=BB51_12 Depth=2
	s_andn2_saveexec_b64 s[6:7], s[6:7]
	s_cbranch_execz .LBB51_36
; %bb.35:                               ;   in Loop: Header=BB51_12 Depth=2
	s_waitcnt vmcnt(0)
	ds_read_b128 v[88:91], v98 offset:1024
.LBB51_36:                              ;   in Loop: Header=BB51_12 Depth=2
	s_or_b64 exec, exec, s[6:7]
.LBB51_37:                              ;   in Loop: Header=BB51_12 Depth=2
	s_or_b64 exec, exec, s[8:9]
.LBB51_38:                              ;   in Loop: Header=BB51_12 Depth=2
	s_or_b64 exec, exec, s[24:25]
	s_and_saveexec_b64 s[6:7], vcc
	s_cbranch_execz .LBB51_11
; %bb.39:                               ;   in Loop: Header=BB51_12 Depth=2
	s_waitcnt vmcnt(0) lgkmcnt(0)
	v_mfma_f32_32x32x16_fp8_fp8 v[48:63], v[84:85], v[72:73], v[48:63]
	v_add_u32_e32 v97, 0x400, v97
	v_cmp_gt_u32_e32 vcc, s12, v97
	v_mfma_f32_32x32x16_fp8_fp8 v[32:47], v[84:85], v[76:77], v[32:47]
	v_mfma_f32_32x32x16_fp8_fp8 v[16:31], v[92:93], v[72:73], v[16:31]
	;; [unrolled: 1-line block ×7, first 2 shown]
	s_and_saveexec_b64 s[8:9], vcc
	s_cbranch_execz .LBB51_10
; %bb.40:                               ;   in Loop: Header=BB51_12 Depth=2
	v_mfma_f32_32x32x16_fp8_fp8 v[48:63], v[80:81], v[64:65], v[48:63]
	v_mfma_f32_32x32x16_fp8_fp8 v[32:47], v[80:81], v[68:69], v[32:47]
	;; [unrolled: 1-line block ×8, first 2 shown]
	s_branch .LBB51_10
.LBB51_41:                              ;   in Loop: Header=BB51_8 Depth=1
	v_mov_b32_e32 v63, v99
	v_mov_b32_e32 v62, v99
	;; [unrolled: 1-line block ×13, first 2 shown]
	s_waitcnt lgkmcnt(0)
	v_mov_b32_e32 v50, v99
	v_mov_b32_e32 v49, v99
	;; [unrolled: 1-line block ×51, first 2 shown]
.LBB51_42:                              ;   in Loop: Header=BB51_8 Depth=1
	;;#ASMSTART
	v_add_f32 v56, v57, v56 row_shl:1 bound_ctrl:0 
	;;#ASMEND
	;;#ASMSTART
	v_add_f32 v40, v41, v40 row_shl:1 bound_ctrl:0 
	;;#ASMEND
	;;#ASMSTART
	v_add_f32 v24, v25, v24 row_shl:1 bound_ctrl:0 
	;;#ASMEND
	;;#ASMSTART
	v_add_f32 v8, v9, v8 row_shl:1 bound_ctrl:0 
	;;#ASMEND
	;;#ASMSTART
	v_add_f32 v48, v49, v48 row_shl:1 bound_ctrl:0 
	;;#ASMEND
	;;#ASMSTART
	v_add_f32 v32, v33, v32 row_shl:1 bound_ctrl:0 
	;;#ASMEND
	s_nop 0
	;;#ASMSTART
	v_add_f32 v56, v58, v56 row_shl:2 bound_ctrl:0 
	;;#ASMEND
	;;#ASMSTART
	v_add_f32 v40, v42, v40 row_shl:2 bound_ctrl:0 
	;;#ASMEND
	;;#ASMSTART
	v_add_f32 v24, v26, v24 row_shl:2 bound_ctrl:0 
	;;#ASMEND
	;;#ASMSTART
	v_add_f32 v8, v10, v8 row_shl:2 bound_ctrl:0 
	;;#ASMEND
	;;#ASMSTART
	v_add_f32 v16, v17, v16 row_shl:1 bound_ctrl:0 
	;;#ASMEND
	;;#ASMSTART
	v_add_f32 v0, v1, v0 row_shl:1 bound_ctrl:0 
	;;#ASMEND
	s_nop 0
	;; [unrolled: 19-line block ×6, first 2 shown]
	;;#ASMSTART
	v_add_f32 v56, v63, v56 row_shl:11 bound_ctrl:0 
	;;#ASMEND
	ds_bpermute_b32 v50, v103, v56 offset:208
	;;#ASMSTART
	v_add_f32 v40, v47, v40 row_shl:11 bound_ctrl:0 
	;;#ASMEND
	ds_bpermute_b32 v34, v103, v40 offset:208
	;; [unrolled: 4-line block ×4, first 2 shown]
	;;#ASMSTART
	v_add_f32 v48, v52, v48 row_shl:8 bound_ctrl:0 
	;;#ASMEND
	;;#ASMSTART
	v_add_f32 v32, v36, v32 row_shl:8 bound_ctrl:0 
	;;#ASMEND
	;; [unrolled: 3-line block ×4, first 2 shown]
	s_waitcnt lgkmcnt(0)
	v_add_f32_e32 v50, v56, v50
	;;#ASMSTART
	v_add_f32 v48, v53, v48 row_shl:9 bound_ctrl:0 
	;;#ASMEND
	;;#ASMSTART
	v_add_f32 v32, v37, v32 row_shl:9 bound_ctrl:0 
	;;#ASMEND
	;; [unrolled: 3-line block ×4, first 2 shown]
	v_add_f32_e32 v34, v40, v34
	;;#ASMSTART
	v_add_f32 v48, v54, v48 row_shl:10 bound_ctrl:0 
	;;#ASMEND
	;;#ASMSTART
	v_add_f32 v32, v38, v32 row_shl:10 bound_ctrl:0 
	;;#ASMEND
	;; [unrolled: 3-line block ×3, first 2 shown]
	v_add_f32_e32 v18, v24, v18
	;;#ASMSTART
	v_add_f32 v0, v6, v0 row_shl:10 bound_ctrl:0 
	;;#ASMEND
	v_add_f32_e32 v2, v8, v2
	;;#ASMSTART
	v_add_f32 v48, v55, v48 row_shl:11 bound_ctrl:0 
	;;#ASMEND
	ds_bpermute_b32 v49, v103, v48 offset:144
	ds_bpermute_b32 v50, v103, v50 offset:64
	;;#ASMSTART
	v_add_f32 v32, v39, v32 row_shl:11 bound_ctrl:0 
	;;#ASMEND
	ds_bpermute_b32 v33, v103, v32 offset:144
	ds_bpermute_b32 v34, v103, v34 offset:64
	;; [unrolled: 5-line block ×4, first 2 shown]
	s_and_saveexec_b64 s[6:7], s[0:1]
	s_cbranch_execz .LBB51_7
; %bb.43:                               ;   in Loop: Header=BB51_8 Depth=1
	s_waitcnt lgkmcnt(7)
	v_add_f32_e32 v2, v48, v49
	s_waitcnt lgkmcnt(6)
	v_add_f32_e32 v2, v2, v50
	v_mul_f32_e32 v2, s15, v2
	v_mul_f32_e32 v2, s28, v2
	v_and_b32_e32 v3, 0x7f800000, v2
	v_cmp_ne_u32_e32 vcc, s31, v3
                                        ; implicit-def: $vgpr5
	s_and_saveexec_b64 s[4:5], vcc
	s_xor_b64 s[4:5], exec, s[4:5]
; %bb.44:                               ;   in Loop: Header=BB51_8 Depth=1
	v_bfe_u32 v3, v2, 16, 1
	v_add3_u32 v5, v2, v3, s33
                                        ; implicit-def: $vgpr2
; %bb.45:                               ;   in Loop: Header=BB51_8 Depth=1
	s_andn2_saveexec_b64 s[4:5], s[4:5]
; %bb.46:                               ;   in Loop: Header=BB51_8 Depth=1
	v_or_b32_e32 v3, 0x10000, v2
	v_cmp_eq_u32_sdwa vcc, v2, v99 src0_sel:WORD_0 src1_sel:DWORD
	s_nop 1
	v_cndmask_b32_e32 v5, v3, v2, vcc
; %bb.47:                               ;   in Loop: Header=BB51_8 Depth=1
	s_or_b64 exec, exec, s[4:5]
	v_mov_b32_e32 v97, v99
	v_lshl_add_u64 v[2:3], v[96:97], 1, s[18:19]
	v_cmp_gt_u32_e32 vcc, s14, v104
	global_store_short_d16_hi v[2:3], v5, off
	s_and_saveexec_b64 s[8:9], vcc
	s_cbranch_execz .LBB51_53
; %bb.48:                               ;   in Loop: Header=BB51_8 Depth=1
	s_waitcnt lgkmcnt(5)
	v_add_f32_e32 v5, v32, v33
	s_waitcnt lgkmcnt(4)
	v_add_f32_e32 v5, v5, v34
	v_mul_f32_e32 v5, s15, v5
	v_mul_f32_e32 v5, s28, v5
	v_and_b32_e32 v6, 0x7f800000, v5
	v_cmp_ne_u32_e64 s[4:5], s31, v6
                                        ; implicit-def: $vgpr6
	s_and_saveexec_b64 s[24:25], s[4:5]
	s_xor_b64 s[4:5], exec, s[24:25]
; %bb.49:                               ;   in Loop: Header=BB51_8 Depth=1
	v_bfe_u32 v6, v5, 16, 1
	v_add3_u32 v6, v5, v6, s33
                                        ; implicit-def: $vgpr5
; %bb.50:                               ;   in Loop: Header=BB51_8 Depth=1
	s_andn2_saveexec_b64 s[24:25], s[4:5]
; %bb.51:                               ;   in Loop: Header=BB51_8 Depth=1
	v_or_b32_e32 v6, 0x10000, v5
	v_cmp_eq_u32_sdwa s[4:5], v5, v99 src0_sel:WORD_0 src1_sel:DWORD
	s_nop 1
	v_cndmask_b32_e64 v6, v6, v5, s[4:5]
; %bb.52:                               ;   in Loop: Header=BB51_8 Depth=1
	s_or_b64 exec, exec, s[24:25]
	global_store_short_d16_hi v[2:3], v6, off offset:2
.LBB51_53:                              ;   in Loop: Header=BB51_8 Depth=1
	s_or_b64 exec, exec, s[8:9]
	s_waitcnt lgkmcnt(3)
	v_add_f32_e32 v2, v16, v17
	s_waitcnt lgkmcnt(2)
	v_add_f32_e32 v2, v2, v18
	v_mul_f32_e32 v2, s15, v2
	v_mul_f32_e32 v3, s28, v2
	v_and_b32_e32 v2, 0x7f800000, v3
	v_cmp_ne_u32_e64 s[4:5], s31, v2
                                        ; implicit-def: $vgpr2
	s_and_saveexec_b64 s[8:9], s[4:5]
	s_xor_b64 s[4:5], exec, s[8:9]
; %bb.54:                               ;   in Loop: Header=BB51_8 Depth=1
	v_bfe_u32 v2, v3, 16, 1
	v_add3_u32 v2, v3, v2, s33
                                        ; implicit-def: $vgpr3
; %bb.55:                               ;   in Loop: Header=BB51_8 Depth=1
	s_andn2_saveexec_b64 s[8:9], s[4:5]
; %bb.56:                               ;   in Loop: Header=BB51_8 Depth=1
	v_or_b32_e32 v2, 0x10000, v3
	v_cmp_eq_u32_sdwa s[4:5], v3, v99 src0_sel:WORD_0 src1_sel:DWORD
	s_nop 1
	v_cndmask_b32_e64 v2, v2, v3, s[4:5]
; %bb.57:                               ;   in Loop: Header=BB51_8 Depth=1
	s_or_b64 exec, exec, s[8:9]
	v_add_u32_e32 v98, s14, v96
	v_lshl_add_u64 v[6:7], v[98:99], 1, s[18:19]
	global_store_short_d16_hi v[6:7], v2, off
	s_and_b64 exec, exec, vcc
	s_cbranch_execz .LBB51_7
; %bb.58:                               ;   in Loop: Header=BB51_8 Depth=1
	s_waitcnt lgkmcnt(1)
	v_add_f32_e32 v0, v0, v1
	s_waitcnt lgkmcnt(0)
	v_add_f32_e32 v0, v0, v4
	v_mul_f32_e32 v0, s15, v0
	v_mul_f32_e32 v1, s28, v0
	v_and_b32_e32 v0, 0x7f800000, v1
	v_cmp_ne_u32_e32 vcc, s31, v0
                                        ; implicit-def: $vgpr0
	s_and_saveexec_b64 s[4:5], vcc
	s_xor_b64 s[4:5], exec, s[4:5]
; %bb.59:                               ;   in Loop: Header=BB51_8 Depth=1
	v_bfe_u32 v0, v1, 16, 1
	v_add3_u32 v0, v1, v0, s33
                                        ; implicit-def: $vgpr1
; %bb.60:                               ;   in Loop: Header=BB51_8 Depth=1
	s_andn2_saveexec_b64 s[4:5], s[4:5]
	s_cbranch_execz .LBB51_6
; %bb.61:                               ;   in Loop: Header=BB51_8 Depth=1
	v_or_b32_e32 v0, 0x10000, v1
	v_cmp_eq_u32_sdwa vcc, v1, v99 src0_sel:WORD_0 src1_sel:DWORD
	s_nop 1
	v_cndmask_b32_e32 v0, v0, v1, vcc
	s_branch .LBB51_6
.LBB51_62:
	s_endpgm
	.section	.rodata,"a",@progbits
	.p2align	6, 0x0
	.amdhsa_kernel _Z13wvSplitKQ_hf_I14__hip_bfloat16N3c1013Float8_e4m3fnELi64ELi2ELi16ELi16ELi2ELi2EEviiiPKT0_S5_PT_PKfS9_ii
		.amdhsa_group_segment_fixed_size 65536
		.amdhsa_private_segment_fixed_size 0
		.amdhsa_kernarg_size 64
		.amdhsa_user_sgpr_count 2
		.amdhsa_user_sgpr_dispatch_ptr 0
		.amdhsa_user_sgpr_queue_ptr 0
		.amdhsa_user_sgpr_kernarg_segment_ptr 1
		.amdhsa_user_sgpr_dispatch_id 0
		.amdhsa_user_sgpr_kernarg_preload_length 0
		.amdhsa_user_sgpr_kernarg_preload_offset 0
		.amdhsa_user_sgpr_private_segment_size 0
		.amdhsa_uses_dynamic_stack 0
		.amdhsa_enable_private_segment 0
		.amdhsa_system_sgpr_workgroup_id_x 1
		.amdhsa_system_sgpr_workgroup_id_y 0
		.amdhsa_system_sgpr_workgroup_id_z 0
		.amdhsa_system_sgpr_workgroup_info 0
		.amdhsa_system_vgpr_workitem_id 1
		.amdhsa_next_free_vgpr 106
		.amdhsa_next_free_sgpr 35
		.amdhsa_accum_offset 108
		.amdhsa_reserve_vcc 1
		.amdhsa_float_round_mode_32 0
		.amdhsa_float_round_mode_16_64 0
		.amdhsa_float_denorm_mode_32 3
		.amdhsa_float_denorm_mode_16_64 3
		.amdhsa_dx10_clamp 1
		.amdhsa_ieee_mode 1
		.amdhsa_fp16_overflow 0
		.amdhsa_tg_split 0
		.amdhsa_exception_fp_ieee_invalid_op 0
		.amdhsa_exception_fp_denorm_src 0
		.amdhsa_exception_fp_ieee_div_zero 0
		.amdhsa_exception_fp_ieee_overflow 0
		.amdhsa_exception_fp_ieee_underflow 0
		.amdhsa_exception_fp_ieee_inexact 0
		.amdhsa_exception_int_div_zero 0
	.end_amdhsa_kernel
	.section	.text._Z13wvSplitKQ_hf_I14__hip_bfloat16N3c1013Float8_e4m3fnELi64ELi2ELi16ELi16ELi2ELi2EEviiiPKT0_S5_PT_PKfS9_ii,"axG",@progbits,_Z13wvSplitKQ_hf_I14__hip_bfloat16N3c1013Float8_e4m3fnELi64ELi2ELi16ELi16ELi2ELi2EEviiiPKT0_S5_PT_PKfS9_ii,comdat
.Lfunc_end51:
	.size	_Z13wvSplitKQ_hf_I14__hip_bfloat16N3c1013Float8_e4m3fnELi64ELi2ELi16ELi16ELi2ELi2EEviiiPKT0_S5_PT_PKfS9_ii, .Lfunc_end51-_Z13wvSplitKQ_hf_I14__hip_bfloat16N3c1013Float8_e4m3fnELi64ELi2ELi16ELi16ELi2ELi2EEviiiPKT0_S5_PT_PKfS9_ii
                                        ; -- End function
	.section	.AMDGPU.csdata,"",@progbits
; Kernel info:
; codeLenInByte = 2616
; NumSgprs: 41
; NumVgprs: 106
; NumAgprs: 0
; TotalNumVgprs: 106
; ScratchSize: 0
; MemoryBound: 1
; FloatMode: 240
; IeeeMode: 1
; LDSByteSize: 65536 bytes/workgroup (compile time only)
; SGPRBlocks: 5
; VGPRBlocks: 13
; NumSGPRsForWavesPerEU: 41
; NumVGPRsForWavesPerEU: 106
; AccumOffset: 108
; Occupancy: 4
; WaveLimiterHint : 0
; COMPUTE_PGM_RSRC2:SCRATCH_EN: 0
; COMPUTE_PGM_RSRC2:USER_SGPR: 2
; COMPUTE_PGM_RSRC2:TRAP_HANDLER: 0
; COMPUTE_PGM_RSRC2:TGID_X_EN: 1
; COMPUTE_PGM_RSRC2:TGID_Y_EN: 0
; COMPUTE_PGM_RSRC2:TGID_Z_EN: 0
; COMPUTE_PGM_RSRC2:TIDIG_COMP_CNT: 1
; COMPUTE_PGM_RSRC3_GFX90A:ACCUM_OFFSET: 26
; COMPUTE_PGM_RSRC3_GFX90A:TG_SPLIT: 0
	.section	.text._Z17wvSplitKQ_hf_sml_I14__hip_bfloat16N3c1013Float8_e4m3fnELi64ELi4ELi16ELi16ELi1ELi3EEviiiPKT0_S5_PT_PKfS9_ii,"axG",@progbits,_Z17wvSplitKQ_hf_sml_I14__hip_bfloat16N3c1013Float8_e4m3fnELi64ELi4ELi16ELi16ELi1ELi3EEviiiPKT0_S5_PT_PKfS9_ii,comdat
	.protected	_Z17wvSplitKQ_hf_sml_I14__hip_bfloat16N3c1013Float8_e4m3fnELi64ELi4ELi16ELi16ELi1ELi3EEviiiPKT0_S5_PT_PKfS9_ii ; -- Begin function _Z17wvSplitKQ_hf_sml_I14__hip_bfloat16N3c1013Float8_e4m3fnELi64ELi4ELi16ELi16ELi1ELi3EEviiiPKT0_S5_PT_PKfS9_ii
	.globl	_Z17wvSplitKQ_hf_sml_I14__hip_bfloat16N3c1013Float8_e4m3fnELi64ELi4ELi16ELi16ELi1ELi3EEviiiPKT0_S5_PT_PKfS9_ii
	.p2align	8
	.type	_Z17wvSplitKQ_hf_sml_I14__hip_bfloat16N3c1013Float8_e4m3fnELi64ELi4ELi16ELi16ELi1ELi3EEviiiPKT0_S5_PT_PKfS9_ii,@function
_Z17wvSplitKQ_hf_sml_I14__hip_bfloat16N3c1013Float8_e4m3fnELi64ELi4ELi16ELi16ELi1ELi3EEviiiPKT0_S5_PT_PKfS9_ii: ; @_Z17wvSplitKQ_hf_sml_I14__hip_bfloat16N3c1013Float8_e4m3fnELi64ELi4ELi16ELi16ELi1ELi3EEviiiPKT0_S5_PT_PKfS9_ii
; %bb.0:
	s_load_dwordx4 s[4:7], s[0:1], 0x0
	s_load_dwordx4 s[8:11], s[0:1], 0x28
	v_bfe_u32 v1, v0, 10, 10
	v_and_b32_e32 v0, 0x3ff, v0
	v_lshlrev_b32_e32 v2, 4, v0
	s_waitcnt lgkmcnt(0)
	s_mul_i32 s3, s4, 3
	scratch_store_dword off, v2, off offset:648 ; 4-byte Folded Spill
	v_lshl_add_u32 v2, v1, 10, v2
	s_min_i32 s3, s3, 0x10000
	v_cmp_gt_u32_e32 vcc, s3, v2
	s_and_saveexec_b64 s[12:13], vcc
	s_cbranch_execz .LBB52_3
; %bb.1:
	s_load_dwordx2 s[14:15], s[0:1], 0x18
	s_mov_b64 s[16:17], 0
.LBB52_2:                               ; =>This Inner Loop Header: Depth=1
	s_waitcnt lgkmcnt(0)
	global_load_dwordx4 v[4:7], v2, s[14:15]
	s_waitcnt vmcnt(0)
	ds_write_b128 v2, v[4:7]
	v_add_u32_e32 v2, 0x4000, v2
	v_cmp_le_u32_e32 vcc, s3, v2
	s_or_b64 s[16:17], vcc, s[16:17]
	s_andn2_b64 exec, exec, s[16:17]
	s_cbranch_execnz .LBB52_2
.LBB52_3:
	s_or_b64 exec, exec, s[12:13]
	s_load_dwordx2 s[16:17], s[0:1], 0x38
	s_waitcnt lgkmcnt(0)
	s_barrier
	v_cmp_gt_u32_e32 vcc, s16, v1
	s_and_saveexec_b64 s[12:13], vcc
	s_cbranch_execz .LBB52_64
; %bb.4:
	s_mul_i32 s2, s2, s16
	v_add_u32_e32 v1, s2, v1
	v_lshlrev_b32_e32 v26, 2, v1
	v_cmp_gt_u32_e32 vcc, s6, v26
	s_and_b64 exec, exec, vcc
	s_cbranch_execz .LBB52_64
; %bb.5:
	s_load_dword s7, s[8:9], 0x0
	s_load_dword s24, s[10:11], 0x0
	s_load_dwordx2 s[12:13], s[0:1], 0x10
	s_load_dwordx2 s[14:15], s[0:1], 0x20
	scratch_load_dword v2, off, off offset:648 ; 4-byte Folded Reload
	v_cmp_eq_u32_e64 s[0:1], 0, v0
	s_cmp_lg_u32 s4, 0
	s_cselect_b64 s[2:3], -1, 0
	s_mul_i32 s18, s16, s17
	s_mov_b32 s9, 0
	s_lshl_b32 s25, s18, 2
	s_mul_i32 s18, s18, s5
	s_mov_b32 s8, s5
	s_lshl_b32 s10, s5, 1
	s_mov_b32 s11, s9
	s_mul_i32 s16, s5, 3
	s_mov_b32 s17, s9
	v_mov_b32_e32 v29, 0
	s_mov_b32 s26, 0x7f800000
	s_movk_i32 s27, 0x7fff
	s_waitcnt vmcnt(0)
	v_lshl_add_u32 v0, s4, 1, v2
	scratch_store_dword off, v0, off offset:656 ; 4-byte Folded Spill
	v_add_u32_e32 v0, s4, v2
	scratch_store_dword off, v0, off offset:660 ; 4-byte Folded Spill
	v_mul_lo_u32 v0, s5, v1
	v_lshl_add_u32 v0, v0, 2, v2
	scratch_store_dword off, v0, off offset:652 ; 4-byte Folded Spill
	v_cndmask_b32_e64 v0, 0, 1, s[2:3]
	v_cmp_ne_u32_e64 s[2:3], 1, v0
	v_mbcnt_lo_u32_b32 v0, -1, 0
	v_mbcnt_hi_u32_b32 v0, -1, v0
	v_lshlrev_b32_e32 v0, 2, v0
	s_lshl_b32 s5, s18, 2
	s_mov_b64 s[18:19], 0
	v_and_b32_e32 v0, 0x100, v0
	scratch_store_dword off, v0, off offset:672 ; 4-byte Folded Spill
	s_branch .LBB52_8
.LBB52_6:                               ;   in Loop: Header=BB52_8 Depth=1
	s_or_b64 exec, exec, s[22:23]
	v_add_u32_e32 v28, 3, v28
	v_lshl_add_u64 v[2:3], v[28:29], 1, s[14:15]
	global_store_short_d16_hi v[2:3], v0, off
.LBB52_7:                               ;   in Loop: Header=BB52_8 Depth=1
	s_or_b64 exec, exec, s[20:21]
	scratch_load_dword v0, off, off offset:652 ; 4-byte Folded Reload
	s_waitcnt vmcnt(2)
	v_add_u32_e32 v26, s25, v26
	v_cmp_le_u32_e32 vcc, s6, v26
	s_or_b64 s[18:19], vcc, s[18:19]
	s_waitcnt vmcnt(0)
	v_add_u32_e32 v0, s5, v0
	scratch_store_dword off, v0, off offset:652 ; 4-byte Folded Spill
	s_andn2_b64 exec, exec, s[18:19]
	s_cbranch_execz .LBB52_64
.LBB52_8:                               ; =>This Loop Header: Depth=1
                                        ;     Child Loop BB52_10 Depth 2
	v_mov_b32_e32 v15, v29
	v_mov_b32_e32 v14, v29
	v_mov_b32_e32 v13, v29
	v_mov_b32_e32 v12, v29
	v_mov_b32_e32 v11, v29
	v_mov_b32_e32 v10, v29
	v_mov_b32_e32 v9, v29
	v_mov_b32_e32 v8, v29
	v_mov_b32_e32 v7, v29
	s_waitcnt lgkmcnt(0)
	v_mov_b32_e32 v6, v29
	v_mov_b32_e32 v5, v29
	;; [unrolled: 1-line block ×7, first 2 shown]
	scratch_store_dwordx2 off, v[26:27], off offset:664 ; 8-byte Folded Spill
	scratch_store_dwordx4 off, v[0:3], off offset:448 ; 16-byte Folded Spill
	s_nop 0
	scratch_store_dwordx4 off, v[4:7], off offset:464 ; 16-byte Folded Spill
	scratch_store_dwordx4 off, v[8:11], off offset:480 ; 16-byte Folded Spill
	;; [unrolled: 1-line block ×4, first 2 shown]
	s_nop 0
	scratch_store_dwordx4 off, v[4:7], off offset:400 ; 16-byte Folded Spill
	scratch_store_dwordx4 off, v[8:11], off offset:416 ; 16-byte Folded Spill
	scratch_store_dwordx4 off, v[12:15], off offset:432 ; 16-byte Folded Spill
	v_mov_b32_e32 v7, v29
	v_mov_b32_e32 v11, v29
	v_mov_b32_e32 v15, v29
	v_mov_b32_e32 v14, v29
	v_mov_b32_e32 v13, v29
	v_mov_b32_e32 v12, v29
	v_mov_b32_e32 v10, v29
	v_mov_b32_e32 v9, v29
	v_mov_b32_e32 v8, v29
	v_mov_b32_e32 v6, v29
	v_mov_b32_e32 v5, v29
	v_mov_b32_e32 v4, v29
	v_mov_b32_e32 v3, v29
	v_mov_b32_e32 v2, v29
	v_mov_b32_e32 v1, v29
	v_mov_b32_e32 v0, v29
	scratch_store_dwordx4 off, v[0:3], off offset:320 ; 16-byte Folded Spill
	s_nop 0
	scratch_store_dwordx4 off, v[4:7], off offset:336 ; 16-byte Folded Spill
	scratch_store_dwordx4 off, v[8:11], off offset:352 ; 16-byte Folded Spill
	scratch_store_dwordx4 off, v[12:15], off offset:368 ; 16-byte Folded Spill
	v_mov_b32_e32 v7, v29
	v_mov_b32_e32 v11, v29
	v_mov_b32_e32 v15, v29
	v_mov_b32_e32 v14, v29
	v_mov_b32_e32 v13, v29
	v_mov_b32_e32 v12, v29
	v_mov_b32_e32 v10, v29
	v_mov_b32_e32 v9, v29
	v_mov_b32_e32 v8, v29
	v_mov_b32_e32 v6, v29
	v_mov_b32_e32 v5, v29
	v_mov_b32_e32 v4, v29
	v_mov_b32_e32 v3, v29
	v_mov_b32_e32 v2, v29
	v_mov_b32_e32 v1, v29
	v_mov_b32_e32 v0, v29
	scratch_store_dwordx4 off, v[0:3], off offset:256 ; 16-byte Folded Spill
	;; [unrolled: 21-line block ×5, first 2 shown]
	s_nop 0
	scratch_store_dwordx4 off, v[4:7], off offset:80 ; 16-byte Folded Spill
	scratch_store_dwordx4 off, v[8:11], off offset:96 ; 16-byte Folded Spill
	;; [unrolled: 1-line block ×3, first 2 shown]
	v_mov_b32_e32 v7, v29
	v_mov_b32_e32 v11, v29
	;; [unrolled: 1-line block ×16, first 2 shown]
	scratch_store_dwordx4 off, v[0:3], off  ; 16-byte Folded Spill
	s_nop 0
	scratch_store_dwordx4 off, v[4:7], off offset:16 ; 16-byte Folded Spill
	scratch_store_dwordx4 off, v[8:11], off offset:32 ; 16-byte Folded Spill
	scratch_store_dwordx4 off, v[12:15], off offset:48 ; 16-byte Folded Spill
	s_and_b64 vcc, exec, s[2:3]
	v_mov_b32_e32 v79, v29
	v_mov_b32_e32 v78, v29
	;; [unrolled: 1-line block ×65, first 2 shown]
	scratch_store_dwordx2 off, v[82:83], off offset:640 ; 8-byte Folded Spill
	s_cbranch_vccnz .LBB52_15
; %bb.9:                                ;   in Loop: Header=BB52_8 Depth=1
	v_mov_b32_e32 v0, 0
	s_mov_b32 s22, 0
	v_mov_b32_e32 v1, v0
	v_mov_b32_e32 v2, v0
	;; [unrolled: 1-line block ×79, first 2 shown]
	scratch_store_dwordx4 off, v[16:19], off offset:512 ; 16-byte Folded Spill
	s_nop 0
	scratch_store_dwordx4 off, v[20:23], off offset:528 ; 16-byte Folded Spill
	scratch_store_dwordx4 off, v[24:27], off offset:544 ; 16-byte Folded Spill
	;; [unrolled: 1-line block ×3, first 2 shown]
	scratch_store_dwordx4 off, v[16:19], off ; 16-byte Folded Spill
	s_nop 0
	scratch_store_dwordx4 off, v[20:23], off offset:16 ; 16-byte Folded Spill
	scratch_store_dwordx4 off, v[24:27], off offset:32 ; 16-byte Folded Spill
	scratch_store_dwordx4 off, v[28:31], off offset:48 ; 16-byte Folded Spill
	scratch_store_dwordx4 off, v[16:19], off offset:64 ; 16-byte Folded Spill
	s_nop 0
	scratch_store_dwordx4 off, v[20:23], off offset:80 ; 16-byte Folded Spill
	scratch_store_dwordx4 off, v[24:27], off offset:96 ; 16-byte Folded Spill
	scratch_store_dwordx4 off, v[28:31], off offset:112 ; 16-byte Folded Spill
	scratch_store_dwordx4 off, v[16:19], off offset:128 ; 16-byte Folded Spill
	;; [unrolled: 5-line block ×5, first 2 shown]
	s_nop 0
	scratch_store_dwordx4 off, v[20:23], off offset:336 ; 16-byte Folded Spill
	scratch_store_dwordx4 off, v[24:27], off offset:352 ; 16-byte Folded Spill
	;; [unrolled: 1-line block ×3, first 2 shown]
.LBB52_10:                              ;   Parent Loop BB52_8 Depth=1
                                        ; =>  This Inner Loop Header: Depth=2
	scratch_load_dword v80, off, off offset:648 ; 4-byte Folded Reload
	s_waitcnt vmcnt(0)
	v_add_u32_e32 v109, s22, v80
	v_mov_b64_e32 v[80:81], 0
	v_cmp_gt_u32_e32 vcc, s4, v109
	v_mov_b64_e32 v[82:83], v[80:81]
	v_mov_b64_e32 v[100:101], v[80:81]
	;; [unrolled: 1-line block ×13, first 2 shown]
	s_and_saveexec_b64 s[20:21], vcc
	s_cbranch_execz .LBB52_12
; %bb.11:                               ;   in Loop: Header=BB52_10 Depth=2
	scratch_load_dword v80, off, off offset:652 ; 4-byte Folded Reload
	scratch_load_dwordx2 v[82:83], off, off offset:640 ; 8-byte Folded Reload
	s_waitcnt vmcnt(0)
	v_add_u32_e32 v82, s22, v80
	s_waitcnt lgkmcnt(0)
	v_lshl_add_u64 v[80:81], s[12:13], 0, v[82:83]
	scratch_store_dwordx2 off, v[82:83], off offset:640 ; 8-byte Folded Spill
	global_load_dwordx4 v[96:99], v82, s[12:13] nt
	v_lshl_add_u64 v[82:83], v[80:81], 0, s[8:9]
	v_lshl_add_u64 v[84:85], v[80:81], 0, s[10:11]
	;; [unrolled: 1-line block ×3, first 2 shown]
	global_load_dwordx4 v[92:95], v[82:83], off nt
	global_load_dwordx4 v[88:91], v[84:85], off nt
	ds_read_b128 v[104:107], v109
	global_load_dwordx4 v[84:87], v[80:81], off nt
	s_nop 0
	scratch_load_dword v80, off, off offset:660 ; 4-byte Folded Reload
	scratch_load_dword v81, off, off offset:656 ; 4-byte Folded Reload
	s_waitcnt vmcnt(1)
	v_add_u32_e32 v80, s22, v80
	s_waitcnt vmcnt(0)
	v_add_u32_e32 v81, s22, v81
	ds_read_b128 v[100:103], v80
	ds_read_b128 v[80:83], v81
.LBB52_12:                              ;   in Loop: Header=BB52_10 Depth=2
	s_or_b64 exec, exec, s[20:21]
	s_waitcnt lgkmcnt(0)
	v_mfma_f32_32x32x16_fp8_fp8 v[48:63], v[104:105], v[92:93], v[48:63]
	s_addk_i32 s22, 0x400
	s_cmp_ge_u32 s22, s4
	v_mfma_f32_32x32x16_fp8_fp8 v[32:47], v[104:105], v[88:89], v[32:47]
	v_mfma_f32_32x32x16_fp8_fp8 v[16:31], v[104:105], v[84:85], v[16:31]
	v_mfma_f32_32x32x16_fp8_fp8 v[48:63], v[106:107], v[94:95], v[48:63]
	s_nop 7
	s_nop 2
	scratch_store_dwordx4 off, v[48:51], off offset:448 ; 16-byte Folded Spill
	s_nop 0
	scratch_store_dwordx4 off, v[52:55], off offset:464 ; 16-byte Folded Spill
	scratch_store_dwordx4 off, v[56:59], off offset:480 ; 16-byte Folded Spill
	scratch_store_dwordx4 off, v[60:63], off offset:496 ; 16-byte Folded Spill
	v_mfma_f32_32x32x16_fp8_fp8 v[32:47], v[106:107], v[90:91], v[32:47]
	s_nop 7
	s_nop 2
	scratch_store_dwordx4 off, v[32:35], off offset:384 ; 16-byte Folded Spill
	s_nop 0
	scratch_store_dwordx4 off, v[36:39], off offset:400 ; 16-byte Folded Spill
	scratch_store_dwordx4 off, v[40:43], off offset:416 ; 16-byte Folded Spill
	scratch_store_dwordx4 off, v[44:47], off offset:432 ; 16-byte Folded Spill
	v_mfma_f32_32x32x16_fp8_fp8 v[16:31], v[106:107], v[86:87], v[16:31]
	;; [unrolled: 8-line block ×3, first 2 shown]
	scratch_load_dwordx4 v[48:51], off, off offset:320 ; 16-byte Folded Reload
	scratch_load_dwordx4 v[52:55], off, off offset:336 ; 16-byte Folded Reload
	;; [unrolled: 1-line block ×4, first 2 shown]
	v_mfma_f32_32x32x16_fp8_fp8 v[64:79], v[106:107], v[98:99], v[64:79]
	scratch_load_dwordx4 v[104:107], off, off offset:256 ; 16-byte Folded Reload
	scratch_load_dwordx4 v[108:111], off, off offset:272 ; 16-byte Folded Reload
	scratch_load_dwordx4 v[112:115], off, off offset:288 ; 16-byte Folded Reload
	scratch_load_dwordx4 v[116:119], off, off offset:304 ; 16-byte Folded Reload
	scratch_load_dwordx4 v[16:19], off, off offset:192 ; 16-byte Folded Reload
	scratch_load_dwordx4 v[20:23], off, off offset:208 ; 16-byte Folded Reload
	scratch_load_dwordx4 v[24:27], off, off offset:224 ; 16-byte Folded Reload
	scratch_load_dwordx4 v[28:31], off, off offset:240 ; 16-byte Folded Reload
	scratch_load_dwordx4 v[32:35], off, off offset:128 ; 16-byte Folded Reload
	scratch_load_dwordx4 v[36:39], off, off offset:144 ; 16-byte Folded Reload
	scratch_load_dwordx4 v[40:43], off, off offset:160 ; 16-byte Folded Reload
	scratch_load_dwordx4 v[44:47], off, off offset:176 ; 16-byte Folded Reload
	v_mfma_f32_32x32x16_fp8_fp8 v[0:15], v[80:81], v[84:85], v[0:15]
	v_mfma_f32_32x32x16_fp8_fp8 v[0:15], v[82:83], v[86:87], v[0:15]
	s_waitcnt vmcnt(12)
	v_mfma_f32_32x32x16_fp8_fp8 v[48:63], v[100:101], v[96:97], v[48:63]
	s_waitcnt vmcnt(8)
	;; [unrolled: 2-line block ×4, first 2 shown]
	v_mfma_f32_32x32x16_fp8_fp8 v[32:47], v[100:101], v[84:85], v[32:47]
	v_mfma_f32_32x32x16_fp8_fp8 v[48:63], v[102:103], v[98:99], v[48:63]
	s_nop 7
	s_nop 2
	scratch_store_dwordx4 off, v[48:51], off offset:320 ; 16-byte Folded Spill
	s_nop 0
	scratch_store_dwordx4 off, v[52:55], off offset:336 ; 16-byte Folded Spill
	scratch_store_dwordx4 off, v[56:59], off offset:352 ; 16-byte Folded Spill
	scratch_store_dwordx4 off, v[60:63], off offset:368 ; 16-byte Folded Spill
	v_mfma_f32_32x32x16_fp8_fp8 v[104:119], v[102:103], v[94:95], v[104:119]
	s_nop 7
	s_nop 2
	scratch_store_dwordx4 off, v[104:107], off offset:256 ; 16-byte Folded Spill
	s_nop 0
	scratch_store_dwordx4 off, v[108:111], off offset:272 ; 16-byte Folded Spill
	scratch_store_dwordx4 off, v[112:115], off offset:288 ; 16-byte Folded Spill
	scratch_store_dwordx4 off, v[116:119], off offset:304 ; 16-byte Folded Spill
	;; [unrolled: 8-line block ×4, first 2 shown]
	scratch_load_dwordx4 v[32:35], off, off offset:64 ; 16-byte Folded Reload
	s_nop 0
	scratch_load_dwordx4 v[36:39], off, off offset:80 ; 16-byte Folded Reload
	scratch_load_dwordx4 v[40:43], off, off offset:96 ; 16-byte Folded Reload
	;; [unrolled: 1-line block ×3, first 2 shown]
	s_waitcnt vmcnt(0)
	v_mfma_f32_32x32x16_fp8_fp8 v[32:47], v[80:81], v[96:97], v[32:47]
	v_mfma_f32_32x32x16_fp8_fp8 v[32:47], v[82:83], v[98:99], v[32:47]
	s_nop 7
	s_nop 2
	scratch_store_dwordx4 off, v[32:35], off offset:64 ; 16-byte Folded Spill
	s_nop 0
	scratch_store_dwordx4 off, v[36:39], off offset:80 ; 16-byte Folded Spill
	scratch_store_dwordx4 off, v[40:43], off offset:96 ; 16-byte Folded Spill
	;; [unrolled: 1-line block ×3, first 2 shown]
	scratch_load_dwordx4 v[96:99], off, off ; 16-byte Folded Reload
	scratch_load_dwordx4 v[100:103], off, off offset:16 ; 16-byte Folded Reload
	scratch_load_dwordx4 v[104:107], off, off offset:32 ; 16-byte Folded Reload
	;; [unrolled: 1-line block ×3, first 2 shown]
	s_waitcnt vmcnt(0)
	v_mfma_f32_32x32x16_fp8_fp8 v[96:111], v[80:81], v[92:93], v[96:111]
	v_mfma_f32_32x32x16_fp8_fp8 v[96:111], v[82:83], v[94:95], v[96:111]
	s_nop 7
	s_nop 2
	scratch_store_dwordx4 off, v[96:99], off ; 16-byte Folded Spill
	s_nop 0
	scratch_store_dwordx4 off, v[100:103], off offset:16 ; 16-byte Folded Spill
	scratch_store_dwordx4 off, v[104:107], off offset:32 ; 16-byte Folded Spill
	;; [unrolled: 1-line block ×3, first 2 shown]
	scratch_load_dwordx4 v[92:95], off, off offset:512 ; 16-byte Folded Reload
	s_nop 0
	scratch_load_dwordx4 v[96:99], off, off offset:528 ; 16-byte Folded Reload
	scratch_load_dwordx4 v[100:103], off, off offset:544 ; 16-byte Folded Reload
	;; [unrolled: 1-line block ×3, first 2 shown]
	s_waitcnt vmcnt(0)
	v_mfma_f32_32x32x16_fp8_fp8 v[92:107], v[80:81], v[88:89], v[92:107]
	v_mfma_f32_32x32x16_fp8_fp8 v[92:107], v[82:83], v[90:91], v[92:107]
	s_cbranch_scc1 .LBB52_14
; %bb.13:                               ;   in Loop: Header=BB52_10 Depth=2
	s_nop 7
	s_nop 1
	scratch_store_dwordx4 off, v[92:95], off offset:512 ; 16-byte Folded Spill
	s_nop 0
	scratch_store_dwordx4 off, v[96:99], off offset:528 ; 16-byte Folded Spill
	scratch_store_dwordx4 off, v[100:103], off offset:544 ; 16-byte Folded Spill
	;; [unrolled: 1-line block ×3, first 2 shown]
	scratch_load_dwordx4 v[16:19], off, off offset:576 ; 16-byte Folded Reload
	scratch_load_dwordx4 v[20:23], off, off offset:592 ; 16-byte Folded Reload
	;; [unrolled: 1-line block ×12, first 2 shown]
	s_branch .LBB52_10
.LBB52_14:                              ;   in Loop: Header=BB52_8 Depth=1
	scratch_load_dwordx4 v[108:111], off, off offset:576 ; 16-byte Folded Reload
	scratch_load_dwordx4 v[112:115], off, off offset:592 ; 16-byte Folded Reload
	;; [unrolled: 1-line block ×4, first 2 shown]
.LBB52_15:                              ;   in Loop: Header=BB52_8 Depth=1
	scratch_load_dword v82, off, off offset:672 ; 4-byte Folded Reload
	scratch_load_dwordx4 v[36:39], off, off offset:448 ; 16-byte Folded Reload
	scratch_load_dwordx4 v[40:43], off, off offset:464 ; 16-byte Folded Reload
	;; [unrolled: 1-line block ×4, first 2 shown]
	s_waitcnt vmcnt(6)
	;;#ASMSTART
	v_add_f32 v116, v117, v116 row_shl:1 bound_ctrl:0 
	;;#ASMEND
	;;#ASMSTART
	v_add_f32 v108, v109, v108 row_shl:1 bound_ctrl:0 
	;;#ASMEND
	scratch_load_dwordx4 v[20:23], off, off offset:384 ; 16-byte Folded Reload
	scratch_load_dwordx4 v[24:27], off, off offset:400 ; 16-byte Folded Reload
	;; [unrolled: 1-line block ×4, first 2 shown]
	;;#ASMSTART
	v_add_f32 v116, v118, v116 row_shl:2 bound_ctrl:0 
	;;#ASMEND
	;;#ASMSTART
	v_add_f32 v108, v110, v108 row_shl:2 bound_ctrl:0 
	;;#ASMEND
	;; [unrolled: 3-line block ×6, first 2 shown]
	s_nop 0
	;;#ASMSTART
	v_add_f32 v116, v119, v116 row_shl:3 bound_ctrl:0 
	;;#ASMEND
	;;#ASMSTART
	v_add_f32 v108, v111, v108 row_shl:3 bound_ctrl:0 
	;;#ASMEND
	;; [unrolled: 3-line block ×6, first 2 shown]
	s_waitcnt vmcnt(9)
	;;#ASMSTART
	v_add_f32 v116, v120, v116 row_shl:8 bound_ctrl:0 
	;;#ASMEND
	;;#ASMSTART
	v_add_f32 v108, v112, v108 row_shl:8 bound_ctrl:0 
	;;#ASMEND
	;;#ASMSTART
	v_add_f32 v72, v75, v72 row_shl:3 bound_ctrl:0 
	;;#ASMEND
	;;#ASMSTART
	v_add_f32 v64, v67, v64 row_shl:3 bound_ctrl:0 
	;;#ASMEND
	;;#ASMSTART
	v_add_f32 v100, v103, v100 row_shl:3 bound_ctrl:0 
	;;#ASMEND
	;;#ASMSTART
	v_add_f32 v8, v11, v8 row_shl:3 bound_ctrl:0 
	;;#ASMEND
	s_nop 0
	;;#ASMSTART
	v_add_f32 v116, v121, v116 row_shl:9 bound_ctrl:0 
	;;#ASMEND
	;;#ASMSTART
	v_add_f32 v108, v113, v108 row_shl:9 bound_ctrl:0 
	;;#ASMEND
	;;#ASMSTART
	v_add_f32 v72, v76, v72 row_shl:8 bound_ctrl:0 
	;;#ASMEND
	;;#ASMSTART
	v_add_f32 v64, v68, v64 row_shl:8 bound_ctrl:0 
	;;#ASMEND
	;;#ASMSTART
	v_add_f32 v100, v104, v100 row_shl:8 bound_ctrl:0 
	;;#ASMEND
	;;#ASMSTART
	v_add_f32 v8, v12, v8 row_shl:8 bound_ctrl:0 
	;;#ASMEND
	s_nop 0
	;; [unrolled: 19-line block ×3, first 2 shown]
	;;#ASMSTART
	v_add_f32 v116, v123, v116 row_shl:11 bound_ctrl:0 
	;;#ASMEND
	;;#ASMSTART
	v_add_f32 v108, v115, v108 row_shl:11 bound_ctrl:0 
	;;#ASMEND
	;; [unrolled: 3-line block ×8, first 2 shown]
	s_nop 0
	;;#ASMSTART
	v_add_f32 v72, v79, v72 row_shl:11 bound_ctrl:0 
	;;#ASMEND
	;;#ASMSTART
	v_add_f32 v64, v71, v64 row_shl:11 bound_ctrl:0 
	;;#ASMEND
	;; [unrolled: 3-line block ×6, first 2 shown]
	s_waitcnt vmcnt(5)
	;;#ASMSTART
	v_add_f32 v44, v45, v44 row_shl:1 bound_ctrl:0 
	;;#ASMEND
	ds_bpermute_b32 v17, v82, v116 offset:208
	;;#ASMSTART
	v_add_f32 v44, v46, v44 row_shl:2 bound_ctrl:0 
	;;#ASMEND
	s_waitcnt vmcnt(1)
	;;#ASMSTART
	v_add_f32 v28, v29, v28 row_shl:1 bound_ctrl:0 
	;;#ASMEND
	;;#ASMSTART
	v_add_f32 v36, v37, v36 row_shl:1 bound_ctrl:0 
	;;#ASMEND
	;; [unrolled: 3-line block ×3, first 2 shown]
	s_waitcnt lgkmcnt(0)
	v_add_f32_e32 v17, v116, v17
	;;#ASMSTART
	v_add_f32 v44, v47, v44 row_shl:3 bound_ctrl:0 
	;;#ASMEND
	;;#ASMSTART
	v_add_f32 v28, v30, v28 row_shl:2 bound_ctrl:0 
	;;#ASMEND
	;; [unrolled: 3-line block ×3, first 2 shown]
	ds_bpermute_b32 v65, v82, v72 offset:208
	;;#ASMSTART
	v_add_f32 v44, v48, v44 row_shl:8 bound_ctrl:0 
	;;#ASMEND
	v_mov_b32_e32 v48, v108
	scratch_load_dwordx4 v[108:111], off, off offset:320 ; 16-byte Folded Reload
	scratch_load_dwordx4 v[112:115], off, off offset:336 ; 16-byte Folded Reload
	scratch_load_dwordx4 v[116:119], off, off offset:352 ; 16-byte Folded Reload
	scratch_load_dwordx4 v[120:123], off, off offset:368 ; 16-byte Folded Reload
	;;#ASMSTART
	v_add_f32 v28, v31, v28 row_shl:3 bound_ctrl:0 
	;;#ASMEND
	;;#ASMSTART
	v_add_f32 v36, v39, v36 row_shl:3 bound_ctrl:0 
	;;#ASMEND
	;; [unrolled: 3-line block ×3, first 2 shown]
	s_waitcnt lgkmcnt(0)
	v_add_f32_e32 v65, v72, v65
	s_waitcnt vmcnt(4)
	;;#ASMSTART
	v_add_f32 v28, v32, v28 row_shl:8 bound_ctrl:0 
	;;#ASMEND
	;;#ASMSTART
	v_add_f32 v36, v40, v36 row_shl:8 bound_ctrl:0 
	;;#ASMEND
	;;#ASMSTART
	v_add_f32 v20, v23, v20 row_shl:3 bound_ctrl:0 
	;;#ASMEND
	;;#ASMSTART
	v_add_f32 v44, v49, v44 row_shl:9 bound_ctrl:0 
	;;#ASMEND
	ds_bpermute_b32 v1, v82, v8 offset:208
	;;#ASMSTART
	v_add_f32 v28, v33, v28 row_shl:9 bound_ctrl:0 
	;;#ASMEND
	;;#ASMSTART
	v_add_f32 v36, v41, v36 row_shl:9 bound_ctrl:0 
	;;#ASMEND
	;;#ASMSTART
	v_add_f32 v20, v24, v20 row_shl:8 bound_ctrl:0 
	;;#ASMEND
	;;#ASMSTART
	v_add_f32 v44, v50, v44 row_shl:10 bound_ctrl:0 
	;;#ASMEND
	ds_bpermute_b32 v24, v82, v100 offset:208
	;; [unrolled: 13-line block ×3, first 2 shown]
	;;#ASMSTART
	v_add_f32 v28, v35, v28 row_shl:11 bound_ctrl:0 
	;;#ASMEND
	ds_bpermute_b32 v33, v82, v28 offset:208
	;;#ASMSTART
	v_add_f32 v36, v43, v36 row_shl:11 bound_ctrl:0 
	;;#ASMEND
	;;#ASMSTART
	v_add_f32 v20, v26, v20 row_shl:10 bound_ctrl:0 
	;;#ASMEND
	s_waitcnt lgkmcnt(1)
	v_add_f32_e32 v49, v44, v49
	;;#ASMSTART
	v_add_f32 v20, v27, v20 row_shl:11 bound_ctrl:0 
	;;#ASMEND
	s_waitcnt lgkmcnt(0)
	v_add_f32_e32 v33, v28, v33
	ds_bpermute_b32 v16, v82, v33 offset:64
	v_mov_b32_e32 v52, v36
	v_mov_b32_e32 v50, v20
	;;#ASMSTART
	v_add_f32 v92, v95, v92 row_shl:3 bound_ctrl:0 
	;;#ASMEND
	;;#ASMSTART
	v_add_f32 v0, v3, v0 row_shl:3 bound_ctrl:0 
	;;#ASMEND
	v_add_f32_e32 v24, v100, v24
	;;#ASMSTART
	v_add_f32 v92, v96, v92 row_shl:8 bound_ctrl:0 
	;;#ASMEND
	;;#ASMSTART
	v_add_f32 v0, v4, v0 row_shl:8 bound_ctrl:0 
	;;#ASMEND
	v_add_f32_e32 v1, v8, v1
	;;#ASMSTART
	v_add_f32 v92, v97, v92 row_shl:9 bound_ctrl:0 
	;;#ASMEND
	;;#ASMSTART
	v_add_f32 v0, v5, v0 row_shl:9 bound_ctrl:0 
	;;#ASMEND
	ds_bpermute_b32 v65, v82, v65 offset:64
	;;#ASMSTART
	v_add_f32 v92, v98, v92 row_shl:10 bound_ctrl:0 
	;;#ASMEND
	;;#ASMSTART
	v_add_f32 v0, v6, v0 row_shl:10 bound_ctrl:0 
	;;#ASMEND
	ds_bpermute_b32 v49, v82, v49 offset:64
	ds_bpermute_b32 v17, v82, v17 offset:64
	;;#ASMSTART
	v_add_f32 v92, v99, v92 row_shl:11 bound_ctrl:0 
	;;#ASMEND
	ds_bpermute_b32 v24, v82, v24 offset:64
	;;#ASMSTART
	v_add_f32 v0, v7, v0 row_shl:11 bound_ctrl:0 
	;;#ASMEND
	ds_bpermute_b32 v1, v82, v1 offset:64
	ds_bpermute_b32 v3, v82, v64 offset:144
	;; [unrolled: 1-line block ×7, first 2 shown]
	s_waitcnt vmcnt(1)
	;;#ASMSTART
	v_add_f32 v116, v117, v116 row_shl:1 bound_ctrl:0 
	;;#ASMEND
	s_nop 0
	;;#ASMSTART
	v_add_f32 v116, v118, v116 row_shl:2 bound_ctrl:0 
	;;#ASMEND
	;;#ASMSTART
	v_add_f32 v108, v109, v108 row_shl:1 bound_ctrl:0 
	;;#ASMEND
	s_nop 0
	;;#ASMSTART
	v_add_f32 v116, v119, v116 row_shl:3 bound_ctrl:0 
	;;#ASMEND
	;;#ASMSTART
	v_add_f32 v108, v110, v108 row_shl:2 bound_ctrl:0 
	;;#ASMEND
	s_waitcnt vmcnt(0)
	;;#ASMSTART
	v_add_f32 v116, v120, v116 row_shl:8 bound_ctrl:0 
	;;#ASMEND
	;;#ASMSTART
	v_add_f32 v108, v111, v108 row_shl:3 bound_ctrl:0 
	;;#ASMEND
	s_nop 0
	;;#ASMSTART
	v_add_f32 v116, v121, v116 row_shl:9 bound_ctrl:0 
	;;#ASMEND
	;;#ASMSTART
	v_add_f32 v108, v112, v108 row_shl:8 bound_ctrl:0 
	;;#ASMEND
	s_nop 0
	;;#ASMSTART
	v_add_f32 v116, v122, v116 row_shl:10 bound_ctrl:0 
	;;#ASMEND
	;;#ASMSTART
	v_add_f32 v108, v113, v108 row_shl:9 bound_ctrl:0 
	;;#ASMEND
	s_nop 0
	;;#ASMSTART
	v_add_f32 v116, v123, v116 row_shl:11 bound_ctrl:0 
	;;#ASMEND
	ds_bpermute_b32 v18, v82, v116 offset:208
	;;#ASMSTART
	v_add_f32 v108, v114, v108 row_shl:10 bound_ctrl:0 
	;;#ASMEND
	s_waitcnt lgkmcnt(0)
	v_add_f32_e32 v18, v116, v18
	;;#ASMSTART
	v_add_f32 v108, v115, v108 row_shl:11 bound_ctrl:0 
	;;#ASMEND
	scratch_load_dwordx4 v[110:113], off, off offset:256 ; 16-byte Folded Reload
	scratch_load_dwordx4 v[114:117], off, off offset:272 ; 16-byte Folded Reload
	;; [unrolled: 1-line block ×12, first 2 shown]
	ds_bpermute_b32 v18, v82, v18 offset:64
	ds_bpermute_b32 v11, v82, v108 offset:144
	s_waitcnt vmcnt(1)
	;;#ASMSTART
	v_add_f32 v34, v35, v34 row_shl:1 bound_ctrl:0 
	;;#ASMEND
	s_nop 0
	;;#ASMSTART
	v_add_f32 v34, v36, v34 row_shl:2 bound_ctrl:0 
	;;#ASMEND
	;;#ASMSTART
	v_add_f32 v26, v27, v26 row_shl:1 bound_ctrl:0 
	;;#ASMEND
	;; [unrolled: 3-line block ×6, first 2 shown]
	s_nop 0
	;;#ASMSTART
	v_add_f32 v34, v37, v34 row_shl:3 bound_ctrl:0 
	;;#ASMEND
	;;#ASMSTART
	v_add_f32 v26, v28, v26 row_shl:2 bound_ctrl:0 
	;;#ASMEND
	;; [unrolled: 3-line block ×6, first 2 shown]
	s_waitcnt vmcnt(0)
	;;#ASMSTART
	v_add_f32 v34, v38, v34 row_shl:8 bound_ctrl:0 
	;;#ASMEND
	;;#ASMSTART
	v_add_f32 v26, v29, v26 row_shl:3 bound_ctrl:0 
	;;#ASMEND
	;;#ASMSTART
	v_add_f32 v118, v121, v118 row_shl:3 bound_ctrl:0 
	;;#ASMEND
	;;#ASMSTART
	v_add_f32 v74, v77, v74 row_shl:3 bound_ctrl:0 
	;;#ASMEND
	;;#ASMSTART
	v_add_f32 v110, v113, v110 row_shl:3 bound_ctrl:0 
	;;#ASMEND
	;;#ASMSTART
	v_add_f32 v66, v69, v66 row_shl:3 bound_ctrl:0 
	;;#ASMEND
	s_nop 0
	;;#ASMSTART
	v_add_f32 v34, v39, v34 row_shl:9 bound_ctrl:0 
	;;#ASMEND
	;;#ASMSTART
	v_add_f32 v26, v30, v26 row_shl:8 bound_ctrl:0 
	;;#ASMEND
	;;#ASMSTART
	v_add_f32 v118, v122, v118 row_shl:8 bound_ctrl:0 
	;;#ASMEND
	;;#ASMSTART
	v_add_f32 v74, v78, v74 row_shl:8 bound_ctrl:0 
	;;#ASMEND
	;;#ASMSTART
	v_add_f32 v110, v114, v110 row_shl:8 bound_ctrl:0 
	;;#ASMEND
	;;#ASMSTART
	v_add_f32 v66, v70, v66 row_shl:8 bound_ctrl:0 
	;;#ASMEND
	s_nop 0
	;; [unrolled: 19-line block ×3, first 2 shown]
	;;#ASMSTART
	v_add_f32 v34, v41, v34 row_shl:11 bound_ctrl:0 
	;;#ASMEND
	ds_bpermute_b32 v21, v82, v34 offset:208
	;;#ASMSTART
	v_add_f32 v26, v32, v26 row_shl:10 bound_ctrl:0 
	;;#ASMEND
	;;#ASMSTART
	v_add_f32 v118, v124, v118 row_shl:10 bound_ctrl:0 
	;;#ASMEND
	;; [unrolled: 3-line block ×4, first 2 shown]
	s_waitcnt lgkmcnt(0)
	v_add_f32_e32 v21, v34, v21
	;;#ASMSTART
	v_add_f32 v26, v33, v26 row_shl:11 bound_ctrl:0 
	;;#ASMEND
	scratch_load_dwordx4 v[30:33], off, off offset:64 ; 16-byte Folded Reload
	scratch_load_dwordx4 v[34:37], off, off offset:80 ; 16-byte Folded Reload
	;; [unrolled: 1-line block ×4, first 2 shown]
	;;#ASMSTART
	v_add_f32 v118, v125, v118 row_shl:11 bound_ctrl:0 
	;;#ASMEND
	ds_bpermute_b32 v19, v82, v118 offset:208
	;;#ASMSTART
	v_add_f32 v74, v81, v74 row_shl:11 bound_ctrl:0 
	;;#ASMEND
	ds_bpermute_b32 v20, v82, v74 offset:208
	;;#ASMSTART
	v_add_f32 v66, v72, v66 row_shl:10 bound_ctrl:0 
	;;#ASMEND
	;;#ASMSTART
	v_add_f32 v110, v117, v110 row_shl:11 bound_ctrl:0 
	;;#ASMEND
	s_waitcnt lgkmcnt(1)
	v_add_f32_e32 v19, v118, v19
	ds_bpermute_b32 v19, v82, v19 offset:64
	s_waitcnt lgkmcnt(1)
	v_add_f32_e32 v20, v74, v20
	;;#ASMSTART
	v_add_f32 v66, v73, v66 row_shl:11 bound_ctrl:0 
	;;#ASMEND
	ds_bpermute_b32 v20, v82, v20 offset:64
	ds_bpermute_b32 v21, v82, v21 offset:64
	;; [unrolled: 1-line block ×5, first 2 shown]
	s_waitcnt vmcnt(1)
	;;#ASMSTART
	v_add_f32 v38, v39, v38 row_shl:1 bound_ctrl:0 
	;;#ASMEND
	s_nop 0
	;;#ASMSTART
	v_add_f32 v38, v40, v38 row_shl:2 bound_ctrl:0 
	;;#ASMEND
	;;#ASMSTART
	v_add_f32 v30, v31, v30 row_shl:1 bound_ctrl:0 
	;;#ASMEND
	s_nop 0
	;;#ASMSTART
	v_add_f32 v38, v41, v38 row_shl:3 bound_ctrl:0 
	;;#ASMEND
	;;#ASMSTART
	v_add_f32 v30, v32, v30 row_shl:2 bound_ctrl:0 
	;;#ASMEND
	s_waitcnt vmcnt(0)
	;;#ASMSTART
	v_add_f32 v38, v42, v38 row_shl:8 bound_ctrl:0 
	;;#ASMEND
	;;#ASMSTART
	v_add_f32 v30, v33, v30 row_shl:3 bound_ctrl:0 
	;;#ASMEND
	s_nop 0
	;;#ASMSTART
	v_add_f32 v38, v43, v38 row_shl:9 bound_ctrl:0 
	;;#ASMEND
	;;#ASMSTART
	v_add_f32 v30, v34, v30 row_shl:8 bound_ctrl:0 
	;;#ASMEND
	s_nop 0
	;; [unrolled: 7-line block ×3, first 2 shown]
	;;#ASMSTART
	v_add_f32 v38, v45, v38 row_shl:11 bound_ctrl:0 
	;;#ASMEND
	ds_bpermute_b32 v22, v82, v38 offset:208
	;;#ASMSTART
	v_add_f32 v30, v36, v30 row_shl:10 bound_ctrl:0 
	;;#ASMEND
	s_waitcnt lgkmcnt(0)
	v_add_f32_e32 v22, v38, v22
	;;#ASMSTART
	v_add_f32 v30, v37, v30 row_shl:11 bound_ctrl:0 
	;;#ASMEND
	scratch_load_dwordx4 v[32:35], off, off ; 16-byte Folded Reload
	scratch_load_dwordx4 v[36:39], off, off offset:16 ; 16-byte Folded Reload
	scratch_load_dwordx4 v[40:43], off, off offset:32 ; 16-byte Folded Reload
	;; [unrolled: 1-line block ×3, first 2 shown]
	ds_bpermute_b32 v22, v82, v22 offset:64
	ds_bpermute_b32 v7, v82, v30 offset:144
	s_waitcnt vmcnt(1)
	;;#ASMSTART
	v_add_f32 v40, v41, v40 row_shl:1 bound_ctrl:0 
	;;#ASMEND
	s_nop 0
	;;#ASMSTART
	v_add_f32 v40, v42, v40 row_shl:2 bound_ctrl:0 
	;;#ASMEND
	;;#ASMSTART
	v_add_f32 v32, v33, v32 row_shl:1 bound_ctrl:0 
	;;#ASMEND
	s_nop 0
	;;#ASMSTART
	v_add_f32 v40, v43, v40 row_shl:3 bound_ctrl:0 
	;;#ASMEND
	;;#ASMSTART
	v_add_f32 v32, v34, v32 row_shl:2 bound_ctrl:0 
	;;#ASMEND
	v_mov_b32_e32 v34, v26
	s_waitcnt vmcnt(0)
	;;#ASMSTART
	v_add_f32 v40, v44, v40 row_shl:8 bound_ctrl:0 
	;;#ASMEND
	;;#ASMSTART
	v_add_f32 v32, v35, v32 row_shl:3 bound_ctrl:0 
	;;#ASMEND
	s_nop 0
	;;#ASMSTART
	v_add_f32 v40, v45, v40 row_shl:9 bound_ctrl:0 
	;;#ASMEND
	;;#ASMSTART
	v_add_f32 v32, v36, v32 row_shl:8 bound_ctrl:0 
	;;#ASMEND
	v_mov_b32_e32 v36, v110
	;;#ASMSTART
	v_add_f32 v40, v46, v40 row_shl:10 bound_ctrl:0 
	;;#ASMEND
	;;#ASMSTART
	v_add_f32 v32, v37, v32 row_shl:9 bound_ctrl:0 
	;;#ASMEND
	s_nop 0
	;;#ASMSTART
	v_add_f32 v40, v47, v40 row_shl:11 bound_ctrl:0 
	;;#ASMEND
	ds_bpermute_b32 v23, v82, v40 offset:208
	;;#ASMSTART
	v_add_f32 v32, v38, v32 row_shl:10 bound_ctrl:0 
	;;#ASMEND
	s_waitcnt lgkmcnt(0)
	v_add_f32_e32 v23, v40, v23
	;;#ASMSTART
	v_add_f32 v32, v39, v32 row_shl:11 bound_ctrl:0 
	;;#ASMEND
	ds_bpermute_b32 v23, v82, v23 offset:64
	ds_bpermute_b32 v6, v82, v32 offset:144
	s_mov_b64 s[20:21], exec
	scratch_load_dwordx2 v[26:27], off, off offset:664 ; 8-byte Folded Reload
	scratch_load_dwordx2 v[28:29], off, off offset:640 ; 8-byte Folded Reload
	s_and_b64 s[22:23], s[20:21], s[0:1]
	s_mov_b64 exec, s[22:23]
	s_cbranch_execz .LBB52_7
; %bb.16:                               ;   in Loop: Header=BB52_8 Depth=1
	v_add_f32_e32 v3, v64, v3
	v_add_f32_e32 v3, v3, v65
	v_mul_f32_e32 v3, s7, v3
	v_mul_f32_e32 v3, s24, v3
	v_and_b32_e32 v14, 0x7f800000, v3
	v_cmp_ne_u32_e32 vcc, s26, v14
                                        ; implicit-def: $vgpr14
	s_and_saveexec_b64 s[22:23], vcc
	s_xor_b64 s[22:23], exec, s[22:23]
; %bb.17:                               ;   in Loop: Header=BB52_8 Depth=1
	v_bfe_u32 v14, v3, 16, 1
	v_add3_u32 v14, v3, v14, s27
                                        ; implicit-def: $vgpr3
; %bb.18:                               ;   in Loop: Header=BB52_8 Depth=1
	s_andn2_saveexec_b64 s[22:23], s[22:23]
	s_cbranch_execz .LBB52_20
; %bb.19:                               ;   in Loop: Header=BB52_8 Depth=1
	v_or_b32_e32 v14, 0x10000, v3
	s_waitcnt vmcnt(0)
	v_cmp_eq_u32_sdwa vcc, v3, v29 src0_sel:WORD_0 src1_sel:DWORD
	s_nop 1
	v_cndmask_b32_e32 v14, v14, v3, vcc
.LBB52_20:                              ;   in Loop: Header=BB52_8 Depth=1
	s_or_b64 exec, exec, s[22:23]
	v_add_f32_e32 v2, v52, v2
	s_waitcnt vmcnt(0)
	v_mov_b32_e32 v27, v29
	v_add_f32_e32 v15, v2, v49
	v_lshl_add_u64 v[2:3], v[26:27], 1, s[14:15]
	global_store_short_d16_hi v[2:3], v14, off
	v_mul_f32_e32 v14, s7, v15
	v_mul_f32_e32 v14, s24, v14
	v_and_b32_e32 v15, 0x7f800000, v14
	v_cmp_ne_u32_e32 vcc, s26, v15
                                        ; implicit-def: $vgpr15
	s_and_saveexec_b64 s[22:23], vcc
	s_xor_b64 s[22:23], exec, s[22:23]
; %bb.21:                               ;   in Loop: Header=BB52_8 Depth=1
	v_bfe_u32 v15, v14, 16, 1
	v_add3_u32 v15, v14, v15, s27
                                        ; implicit-def: $vgpr14
; %bb.22:                               ;   in Loop: Header=BB52_8 Depth=1
	s_andn2_saveexec_b64 s[22:23], s[22:23]
; %bb.23:                               ;   in Loop: Header=BB52_8 Depth=1
	v_or_b32_e32 v15, 0x10000, v14
	v_cmp_eq_u32_sdwa vcc, v14, v29 src0_sel:WORD_0 src1_sel:DWORD
	s_nop 1
	v_cndmask_b32_e32 v15, v15, v14, vcc
; %bb.24:                               ;   in Loop: Header=BB52_8 Depth=1
	s_or_b64 exec, exec, s[22:23]
	v_add_f32_e32 v13, v50, v13
	v_add_f32_e32 v13, v13, v16
	v_mul_f32_e32 v13, s7, v13
	v_mul_f32_e32 v13, s24, v13
	v_and_b32_e32 v14, 0x7f800000, v13
	v_cmp_ne_u32_e32 vcc, s26, v14
	global_store_short_d16_hi v[2:3], v15, off offset:2
                                        ; implicit-def: $vgpr14
	s_and_saveexec_b64 s[22:23], vcc
	s_xor_b64 s[22:23], exec, s[22:23]
; %bb.25:                               ;   in Loop: Header=BB52_8 Depth=1
	v_bfe_u32 v14, v13, 16, 1
	v_add3_u32 v14, v13, v14, s27
                                        ; implicit-def: $vgpr13
; %bb.26:                               ;   in Loop: Header=BB52_8 Depth=1
	s_andn2_saveexec_b64 s[22:23], s[22:23]
; %bb.27:                               ;   in Loop: Header=BB52_8 Depth=1
	v_or_b32_e32 v14, 0x10000, v13
	v_cmp_eq_u32_sdwa vcc, v13, v29 src0_sel:WORD_0 src1_sel:DWORD
	s_nop 1
	v_cndmask_b32_e32 v14, v14, v13, vcc
; %bb.28:                               ;   in Loop: Header=BB52_8 Depth=1
	s_or_b64 exec, exec, s[22:23]
	v_add_f32_e32 v12, v48, v12
	v_add_f32_e32 v12, v12, v17
	v_mul_f32_e32 v12, s7, v12
	v_mul_f32_e32 v12, s24, v12
	v_and_b32_e32 v13, 0x7f800000, v12
	v_cmp_ne_u32_e32 vcc, s26, v13
	global_store_short_d16_hi v[2:3], v14, off offset:4
                                        ; implicit-def: $vgpr13
	s_and_saveexec_b64 s[22:23], vcc
	s_xor_b64 s[22:23], exec, s[22:23]
; %bb.29:                               ;   in Loop: Header=BB52_8 Depth=1
	v_bfe_u32 v13, v12, 16, 1
	v_add3_u32 v13, v12, v13, s27
                                        ; implicit-def: $vgpr12
; %bb.30:                               ;   in Loop: Header=BB52_8 Depth=1
	s_andn2_saveexec_b64 s[22:23], s[22:23]
; %bb.31:                               ;   in Loop: Header=BB52_8 Depth=1
	v_or_b32_e32 v13, 0x10000, v12
	v_cmp_eq_u32_sdwa vcc, v12, v29 src0_sel:WORD_0 src1_sel:DWORD
	s_nop 1
	v_cndmask_b32_e32 v13, v13, v12, vcc
; %bb.32:                               ;   in Loop: Header=BB52_8 Depth=1
	s_or_b64 exec, exec, s[22:23]
	v_add_f32_e32 v11, v108, v11
	v_add_f32_e32 v11, v11, v18
	global_store_short_d16_hi v[2:3], v13, off offset:6
	v_mul_f32_e32 v2, s7, v11
	v_mul_f32_e32 v3, s24, v2
	v_and_b32_e32 v2, 0x7f800000, v3
	v_cmp_ne_u32_e32 vcc, s26, v2
                                        ; implicit-def: $vgpr2
	s_and_saveexec_b64 s[22:23], vcc
	s_xor_b64 s[22:23], exec, s[22:23]
; %bb.33:                               ;   in Loop: Header=BB52_8 Depth=1
	v_bfe_u32 v2, v3, 16, 1
	v_add3_u32 v2, v3, v2, s27
                                        ; implicit-def: $vgpr3
; %bb.34:                               ;   in Loop: Header=BB52_8 Depth=1
	s_andn2_saveexec_b64 s[22:23], s[22:23]
; %bb.35:                               ;   in Loop: Header=BB52_8 Depth=1
	v_or_b32_e32 v2, 0x10000, v3
	v_cmp_eq_u32_sdwa vcc, v3, v29 src0_sel:WORD_0 src1_sel:DWORD
	s_nop 1
	v_cndmask_b32_e32 v2, v2, v3, vcc
; %bb.36:                               ;   in Loop: Header=BB52_8 Depth=1
	s_or_b64 exec, exec, s[22:23]
	v_add_u32_e32 v28, s6, v26
	v_add_f32_e32 v3, v36, v10
	v_add_f32_e32 v3, v3, v19
	v_lshl_add_u64 v[10:11], v[28:29], 1, s[14:15]
	global_store_short_d16_hi v[10:11], v2, off
	v_mul_f32_e32 v2, s7, v3
	v_mul_f32_e32 v3, s24, v2
	v_and_b32_e32 v2, 0x7f800000, v3
	v_cmp_ne_u32_e32 vcc, s26, v2
                                        ; implicit-def: $vgpr2
	s_and_saveexec_b64 s[22:23], vcc
	s_xor_b64 s[22:23], exec, s[22:23]
; %bb.37:                               ;   in Loop: Header=BB52_8 Depth=1
	v_bfe_u32 v2, v3, 16, 1
	v_add3_u32 v2, v3, v2, s27
                                        ; implicit-def: $vgpr3
; %bb.38:                               ;   in Loop: Header=BB52_8 Depth=1
	s_andn2_saveexec_b64 s[22:23], s[22:23]
; %bb.39:                               ;   in Loop: Header=BB52_8 Depth=1
	v_or_b32_e32 v2, 0x10000, v3
	v_cmp_eq_u32_sdwa vcc, v3, v29 src0_sel:WORD_0 src1_sel:DWORD
	s_nop 1
	v_cndmask_b32_e32 v2, v2, v3, vcc
; %bb.40:                               ;   in Loop: Header=BB52_8 Depth=1
	s_or_b64 exec, exec, s[22:23]
	v_add_f32_e32 v3, v66, v9
	v_add_u32_e32 v10, 1, v28
	v_mov_b32_e32 v11, v29
	v_add_f32_e32 v3, v3, v20
	v_lshl_add_u64 v[10:11], v[10:11], 1, s[14:15]
	global_store_short_d16_hi v[10:11], v2, off
	v_mul_f32_e32 v2, s7, v3
	v_mul_f32_e32 v3, s24, v2
	v_and_b32_e32 v2, 0x7f800000, v3
	v_cmp_ne_u32_e32 vcc, s26, v2
                                        ; implicit-def: $vgpr2
	s_and_saveexec_b64 s[22:23], vcc
	s_xor_b64 s[22:23], exec, s[22:23]
; %bb.41:                               ;   in Loop: Header=BB52_8 Depth=1
	v_bfe_u32 v2, v3, 16, 1
	v_add3_u32 v2, v3, v2, s27
                                        ; implicit-def: $vgpr3
; %bb.42:                               ;   in Loop: Header=BB52_8 Depth=1
	s_andn2_saveexec_b64 s[22:23], s[22:23]
; %bb.43:                               ;   in Loop: Header=BB52_8 Depth=1
	v_or_b32_e32 v2, 0x10000, v3
	v_cmp_eq_u32_sdwa vcc, v3, v29 src0_sel:WORD_0 src1_sel:DWORD
	s_nop 1
	v_cndmask_b32_e32 v2, v2, v3, vcc
; %bb.44:                               ;   in Loop: Header=BB52_8 Depth=1
	s_or_b64 exec, exec, s[22:23]
	v_add_f32_e32 v3, v34, v8
	v_add_u32_e32 v8, 2, v28
	v_mov_b32_e32 v9, v29
	;; [unrolled: 26-line block ×3, first 2 shown]
	v_add_f32_e32 v3, v3, v22
	v_lshl_add_u64 v[8:9], v[8:9], 1, s[14:15]
	global_store_short_d16_hi v[8:9], v2, off
	v_mul_f32_e32 v2, s7, v3
	v_mul_f32_e32 v2, s24, v2
	v_and_b32_e32 v3, 0x7f800000, v2
	v_cmp_ne_u32_e32 vcc, s26, v3
                                        ; implicit-def: $vgpr7
	s_and_saveexec_b64 s[22:23], vcc
	s_xor_b64 s[22:23], exec, s[22:23]
; %bb.49:                               ;   in Loop: Header=BB52_8 Depth=1
	v_bfe_u32 v3, v2, 16, 1
	v_add3_u32 v7, v2, v3, s27
                                        ; implicit-def: $vgpr2
; %bb.50:                               ;   in Loop: Header=BB52_8 Depth=1
	s_andn2_saveexec_b64 s[22:23], s[22:23]
; %bb.51:                               ;   in Loop: Header=BB52_8 Depth=1
	v_or_b32_e32 v3, 0x10000, v2
	v_cmp_eq_u32_sdwa vcc, v2, v29 src0_sel:WORD_0 src1_sel:DWORD
	s_nop 1
	v_cndmask_b32_e32 v7, v3, v2, vcc
; %bb.52:                               ;   in Loop: Header=BB52_8 Depth=1
	s_or_b64 exec, exec, s[22:23]
	s_waitcnt lgkmcnt(0)
	v_add_f32_e32 v2, v32, v6
	v_add_f32_e32 v6, v2, v23
	v_add_u32_e32 v28, s6, v28
	v_mul_f32_e32 v6, s7, v6
	v_lshl_add_u64 v[2:3], v[28:29], 1, s[14:15]
	v_mul_f32_e32 v6, s24, v6
	global_store_short_d16_hi v[2:3], v7, off
	v_and_b32_e32 v7, 0x7f800000, v6
	v_cmp_ne_u32_e32 vcc, s26, v7
                                        ; implicit-def: $vgpr7
	s_and_saveexec_b64 s[22:23], vcc
	s_xor_b64 s[22:23], exec, s[22:23]
; %bb.53:                               ;   in Loop: Header=BB52_8 Depth=1
	v_bfe_u32 v7, v6, 16, 1
	v_add3_u32 v7, v6, v7, s27
                                        ; implicit-def: $vgpr6
; %bb.54:                               ;   in Loop: Header=BB52_8 Depth=1
	s_andn2_saveexec_b64 s[22:23], s[22:23]
; %bb.55:                               ;   in Loop: Header=BB52_8 Depth=1
	v_or_b32_e32 v7, 0x10000, v6
	v_cmp_eq_u32_sdwa vcc, v6, v29 src0_sel:WORD_0 src1_sel:DWORD
	s_nop 1
	v_cndmask_b32_e32 v7, v7, v6, vcc
; %bb.56:                               ;   in Loop: Header=BB52_8 Depth=1
	s_or_b64 exec, exec, s[22:23]
	v_add_f32_e32 v5, v92, v5
	v_add_f32_e32 v5, v5, v24
	global_store_short_d16_hi v[2:3], v7, off offset:2
	v_mul_f32_e32 v2, s7, v5
	v_mul_f32_e32 v3, s24, v2
	v_and_b32_e32 v2, 0x7f800000, v3
	v_cmp_ne_u32_e32 vcc, s26, v2
                                        ; implicit-def: $vgpr2
	s_and_saveexec_b64 s[22:23], vcc
	s_xor_b64 s[22:23], exec, s[22:23]
; %bb.57:                               ;   in Loop: Header=BB52_8 Depth=1
	v_bfe_u32 v2, v3, 16, 1
	v_add3_u32 v2, v3, v2, s27
                                        ; implicit-def: $vgpr3
; %bb.58:                               ;   in Loop: Header=BB52_8 Depth=1
	s_andn2_saveexec_b64 s[22:23], s[22:23]
; %bb.59:                               ;   in Loop: Header=BB52_8 Depth=1
	v_or_b32_e32 v2, 0x10000, v3
	v_cmp_eq_u32_sdwa vcc, v3, v29 src0_sel:WORD_0 src1_sel:DWORD
	s_nop 1
	v_cndmask_b32_e32 v2, v2, v3, vcc
; %bb.60:                               ;   in Loop: Header=BB52_8 Depth=1
	s_or_b64 exec, exec, s[22:23]
	v_add_f32_e32 v0, v0, v4
	v_add_f32_e32 v3, v0, v1
	v_add_u32_e32 v0, 2, v28
	v_mov_b32_e32 v1, v29
	v_lshl_add_u64 v[0:1], v[0:1], 1, s[14:15]
	global_store_short_d16_hi v[0:1], v2, off
	v_mul_f32_e32 v0, s7, v3
	v_mul_f32_e32 v1, s24, v0
	v_and_b32_e32 v0, 0x7f800000, v1
	v_cmp_ne_u32_e32 vcc, s26, v0
                                        ; implicit-def: $vgpr0
	s_and_saveexec_b64 s[22:23], vcc
	s_xor_b64 s[22:23], exec, s[22:23]
; %bb.61:                               ;   in Loop: Header=BB52_8 Depth=1
	v_bfe_u32 v0, v1, 16, 1
	v_add3_u32 v0, v1, v0, s27
                                        ; implicit-def: $vgpr1
; %bb.62:                               ;   in Loop: Header=BB52_8 Depth=1
	s_andn2_saveexec_b64 s[22:23], s[22:23]
	s_cbranch_execz .LBB52_6
; %bb.63:                               ;   in Loop: Header=BB52_8 Depth=1
	v_or_b32_e32 v0, 0x10000, v1
	v_cmp_eq_u32_sdwa vcc, v1, v29 src0_sel:WORD_0 src1_sel:DWORD
	s_nop 1
	v_cndmask_b32_e32 v0, v0, v1, vcc
	s_branch .LBB52_6
.LBB52_64:
	s_endpgm
	.section	.rodata,"a",@progbits
	.p2align	6, 0x0
	.amdhsa_kernel _Z17wvSplitKQ_hf_sml_I14__hip_bfloat16N3c1013Float8_e4m3fnELi64ELi4ELi16ELi16ELi1ELi3EEviiiPKT0_S5_PT_PKfS9_ii
		.amdhsa_group_segment_fixed_size 65536
		.amdhsa_private_segment_fixed_size 680
		.amdhsa_kernarg_size 64
		.amdhsa_user_sgpr_count 2
		.amdhsa_user_sgpr_dispatch_ptr 0
		.amdhsa_user_sgpr_queue_ptr 0
		.amdhsa_user_sgpr_kernarg_segment_ptr 1
		.amdhsa_user_sgpr_dispatch_id 0
		.amdhsa_user_sgpr_kernarg_preload_length 0
		.amdhsa_user_sgpr_kernarg_preload_offset 0
		.amdhsa_user_sgpr_private_segment_size 0
		.amdhsa_uses_dynamic_stack 0
		.amdhsa_enable_private_segment 1
		.amdhsa_system_sgpr_workgroup_id_x 1
		.amdhsa_system_sgpr_workgroup_id_y 0
		.amdhsa_system_sgpr_workgroup_id_z 0
		.amdhsa_system_sgpr_workgroup_info 0
		.amdhsa_system_vgpr_workitem_id 1
		.amdhsa_next_free_vgpr 126
		.amdhsa_next_free_sgpr 28
		.amdhsa_accum_offset 128
		.amdhsa_reserve_vcc 1
		.amdhsa_float_round_mode_32 0
		.amdhsa_float_round_mode_16_64 0
		.amdhsa_float_denorm_mode_32 3
		.amdhsa_float_denorm_mode_16_64 3
		.amdhsa_dx10_clamp 1
		.amdhsa_ieee_mode 1
		.amdhsa_fp16_overflow 0
		.amdhsa_tg_split 0
		.amdhsa_exception_fp_ieee_invalid_op 0
		.amdhsa_exception_fp_denorm_src 0
		.amdhsa_exception_fp_ieee_div_zero 0
		.amdhsa_exception_fp_ieee_overflow 0
		.amdhsa_exception_fp_ieee_underflow 0
		.amdhsa_exception_fp_ieee_inexact 0
		.amdhsa_exception_int_div_zero 0
	.end_amdhsa_kernel
	.section	.text._Z17wvSplitKQ_hf_sml_I14__hip_bfloat16N3c1013Float8_e4m3fnELi64ELi4ELi16ELi16ELi1ELi3EEviiiPKT0_S5_PT_PKfS9_ii,"axG",@progbits,_Z17wvSplitKQ_hf_sml_I14__hip_bfloat16N3c1013Float8_e4m3fnELi64ELi4ELi16ELi16ELi1ELi3EEviiiPKT0_S5_PT_PKfS9_ii,comdat
.Lfunc_end52:
	.size	_Z17wvSplitKQ_hf_sml_I14__hip_bfloat16N3c1013Float8_e4m3fnELi64ELi4ELi16ELi16ELi1ELi3EEviiiPKT0_S5_PT_PKfS9_ii, .Lfunc_end52-_Z17wvSplitKQ_hf_sml_I14__hip_bfloat16N3c1013Float8_e4m3fnELi64ELi4ELi16ELi16ELi1ELi3EEviiiPKT0_S5_PT_PKfS9_ii
                                        ; -- End function
	.section	.AMDGPU.csdata,"",@progbits
; Kernel info:
; codeLenInByte = 6792
; NumSgprs: 34
; NumVgprs: 126
; NumAgprs: 0
; TotalNumVgprs: 126
; ScratchSize: 680
; MemoryBound: 1
; FloatMode: 240
; IeeeMode: 1
; LDSByteSize: 65536 bytes/workgroup (compile time only)
; SGPRBlocks: 4
; VGPRBlocks: 15
; NumSGPRsForWavesPerEU: 34
; NumVGPRsForWavesPerEU: 126
; AccumOffset: 128
; Occupancy: 4
; WaveLimiterHint : 0
; COMPUTE_PGM_RSRC2:SCRATCH_EN: 1
; COMPUTE_PGM_RSRC2:USER_SGPR: 2
; COMPUTE_PGM_RSRC2:TRAP_HANDLER: 0
; COMPUTE_PGM_RSRC2:TGID_X_EN: 1
; COMPUTE_PGM_RSRC2:TGID_Y_EN: 0
; COMPUTE_PGM_RSRC2:TGID_Z_EN: 0
; COMPUTE_PGM_RSRC2:TIDIG_COMP_CNT: 1
; COMPUTE_PGM_RSRC3_GFX90A:ACCUM_OFFSET: 31
; COMPUTE_PGM_RSRC3_GFX90A:TG_SPLIT: 0
	.section	.text._Z13wvSplitKQ_hf_I14__hip_bfloat16N3c1013Float8_e4m3fnELi64ELi7ELi16ELi16ELi1ELi3EEviiiPKT0_S5_PT_PKfS9_ii,"axG",@progbits,_Z13wvSplitKQ_hf_I14__hip_bfloat16N3c1013Float8_e4m3fnELi64ELi7ELi16ELi16ELi1ELi3EEviiiPKT0_S5_PT_PKfS9_ii,comdat
	.protected	_Z13wvSplitKQ_hf_I14__hip_bfloat16N3c1013Float8_e4m3fnELi64ELi7ELi16ELi16ELi1ELi3EEviiiPKT0_S5_PT_PKfS9_ii ; -- Begin function _Z13wvSplitKQ_hf_I14__hip_bfloat16N3c1013Float8_e4m3fnELi64ELi7ELi16ELi16ELi1ELi3EEviiiPKT0_S5_PT_PKfS9_ii
	.globl	_Z13wvSplitKQ_hf_I14__hip_bfloat16N3c1013Float8_e4m3fnELi64ELi7ELi16ELi16ELi1ELi3EEviiiPKT0_S5_PT_PKfS9_ii
	.p2align	8
	.type	_Z13wvSplitKQ_hf_I14__hip_bfloat16N3c1013Float8_e4m3fnELi64ELi7ELi16ELi16ELi1ELi3EEviiiPKT0_S5_PT_PKfS9_ii,@function
_Z13wvSplitKQ_hf_I14__hip_bfloat16N3c1013Float8_e4m3fnELi64ELi7ELi16ELi16ELi1ELi3EEviiiPKT0_S5_PT_PKfS9_ii: ; @_Z13wvSplitKQ_hf_I14__hip_bfloat16N3c1013Float8_e4m3fnELi64ELi7ELi16ELi16ELi1ELi3EEviiiPKT0_S5_PT_PKfS9_ii
; %bb.0:
	s_load_dwordx4 s[20:23], s[0:1], 0x0
	s_load_dwordx2 s[24:25], s[0:1], 0x18
	s_load_dwordx4 s[4:7], s[0:1], 0x28
	v_bfe_u32 v1, v0, 10, 10
	v_and_b32_e32 v0, 0x3ff, v0
	v_lshlrev_b32_e32 v4, 4, v0
	v_mov_b32_e32 v2, v4
	s_waitcnt lgkmcnt(0)
	s_mul_i32 s3, s20, 3
	scratch_store_dwordx2 off, v[2:3], off offset:2592 ; 8-byte Folded Spill
	v_lshl_add_u32 v2, v1, 10, v4
	s_min_i32 s3, s3, 0x10000
	v_cmp_gt_u32_e32 vcc, s3, v2
	s_and_saveexec_b64 s[8:9], vcc
	s_cbranch_execz .LBB53_3
; %bb.1:
	s_mov_b64 s[10:11], 0
.LBB53_2:                               ; =>This Inner Loop Header: Depth=1
	global_load_dwordx4 v[4:7], v2, s[24:25]
	s_waitcnt vmcnt(0)
	ds_write_b128 v2, v[4:7]
	v_add_u32_e32 v2, 0x4000, v2
	v_cmp_le_u32_e32 vcc, s3, v2
	s_or_b64 s[10:11], vcc, s[10:11]
	s_andn2_b64 exec, exec, s[10:11]
	s_cbranch_execnz .LBB53_2
.LBB53_3:
	s_or_b64 exec, exec, s[8:9]
	s_load_dwordx2 s[8:9], s[0:1], 0x38
	s_waitcnt lgkmcnt(0)
	s_barrier
	v_cmp_gt_u32_e32 vcc, s8, v1
	s_and_saveexec_b64 s[10:11], vcc
	s_cbranch_execz .LBB53_139
; %bb.4:
	s_mul_i32 s2, s2, s8
	v_add_u32_e32 v1, s2, v1
	v_mul_lo_u32 v20, v1, 7
	v_cmp_gt_u32_e32 vcc, s22, v20
	s_and_b64 exec, exec, vcc
	s_cbranch_execz .LBB53_139
; %bb.5:
	s_load_dword s23, s[4:5], 0x0
	s_load_dword s33, s[6:7], 0x0
	s_load_dwordx2 s[26:27], s[0:1], 0x10
	s_load_dwordx2 s[28:29], s[0:1], 0x20
	scratch_load_dwordx2 v[2:3], off, off offset:2592 ; 8-byte Folded Reload
	s_mov_b32 s4, 0
	v_cmp_eq_u32_e64 s[0:1], 0, v0
	v_mul_lo_u32 v0, s21, v1
	s_mov_b32 s5, s4
	s_mov_b32 s6, s4
	;; [unrolled: 1-line block ×3, first 2 shown]
	s_mul_i32 s38, s8, s9
	s_cmp_lg_u32 s20, 0
	s_mul_i32 s38, s38, 7
	s_cselect_b64 s[30:31], -1, 0
	s_lshl_b32 s39, s22, 1
	s_mul_i32 s40, s38, s21
	s_ashr_i32 s35, s21, 31
	s_mov_b32 s34, s21
	s_mov_b64 s[36:37], 0
	s_mov_b32 s21, 0xffff
	s_mov_b32 s41, 0x7f800000
	s_movk_i32 s42, 0x7fff
	s_waitcnt vmcnt(0)
	v_mad_u64_u32 v[0:1], s[2:3], v0, 7, v[2:3]
	scratch_store_dwordx2 off, v[0:1], off offset:2876 ; 8-byte Folded Spill
	v_mov_b64_e32 v[0:1], s[4:5]
	v_mov_b64_e32 v[2:3], s[6:7]
	scratch_store_dwordx4 off, v[0:3], off offset:2884 ; 16-byte Folded Spill
	s_nop 1
	v_mov_b32_e32 v1, 0
	scratch_store_dwordx2 off, v[0:1], off offset:1456 ; 8-byte Folded Spill
	v_mbcnt_lo_u32_b32 v0, -1, 0
	v_mbcnt_hi_u32_b32 v0, -1, v0
	v_lshlrev_b32_e32 v0, 2, v0
	v_and_b32_e32 v22, 0x100, v0
	scratch_store_dword off, v22, off offset:2600 ; 4-byte Folded Spill
	s_branch .LBB53_8
.LBB53_6:                               ;   in Loop: Header=BB53_8 Depth=1
	s_or_b64 exec, exec, s[2:3]
	scratch_load_dwordx2 v[2:3], off, off offset:1456 ; 8-byte Folded Reload
	v_add_u32_e32 v4, s39, v0
	s_waitcnt vmcnt(0)
	v_mov_b32_e32 v5, v3
	scratch_store_dwordx2 off, v[2:3], off offset:1456 ; 8-byte Folded Spill
	v_lshl_add_u64 v[2:3], v[4:5], 1, s[28:29]
	global_store_short_d16_hi v[2:3], v1, off
.LBB53_7:                               ;   in Loop: Header=BB53_8 Depth=1
	s_or_b64 exec, exec, s[6:7]
	scratch_load_dwordx2 v[0:1], off, off offset:2876 ; 8-byte Folded Reload
	v_add_u32_e32 v20, s38, v20
	v_cmp_le_u32_e32 vcc, s22, v20
	s_or_b64 s[36:37], vcc, s[36:37]
	s_waitcnt vmcnt(0)
	v_add_u32_e32 v0, s40, v0
	scratch_store_dwordx2 off, v[0:1], off offset:2876 ; 8-byte Folded Spill
	s_andn2_b64 exec, exec, s[36:37]
	s_cbranch_execz .LBB53_139
.LBB53_8:                               ; =>This Loop Header: Depth=1
                                        ;     Child Loop BB53_12 Depth 2
                                        ;       Child Loop BB53_14 Depth 3
                                        ;     Child Loop BB53_29 Depth 2
                                        ;     Child Loop BB53_31 Depth 2
	;; [unrolled: 1-line block ×3, first 2 shown]
	scratch_load_dwordx4 v[0:3], off, off offset:2884 ; 16-byte Folded Reload
	s_and_b64 vcc, exec, s[30:31]
	s_waitcnt vmcnt(0)
	scratch_store_dwordx4 off, v[0:3], off offset:48
	scratch_store_dwordx4 off, v[0:3], off offset:32
	;; [unrolled: 1-line block ×3, first 2 shown]
	scratch_store_dwordx4 off, v[0:3], off
	scratch_store_dwordx4 off, v[0:3], off offset:496
	scratch_store_dwordx4 off, v[0:3], off offset:480
	;; [unrolled: 1-line block ×80, first 2 shown]
	s_cbranch_vccz .LBB53_28
; %bb.9:                                ;   in Loop: Header=BB53_8 Depth=1
	scratch_store_dwordx2 off, v[20:21], off offset:1592 ; 8-byte Folded Spill
	scratch_load_dwordx2 v[0:1], off, off offset:2876 ; 8-byte Folded Reload
	scratch_load_dwordx2 v[2:3], off, off offset:1456 ; 8-byte Folded Reload
	s_mov_b32 s18, s4
	s_mov_b32 s19, s4
	;; [unrolled: 1-line block ×15, first 2 shown]
	v_mov_b64_e32 v[78:79], s[18:19]
	v_mov_b64_e32 v[76:77], s[16:17]
	v_mov_b64_e32 v[74:75], s[14:15]
	v_mov_b64_e32 v[72:73], s[12:13]
	v_mov_b64_e32 v[70:71], s[10:11]
	v_mov_b64_e32 v[68:69], s[8:9]
	v_mov_b64_e32 v[66:67], s[6:7]
	v_mov_b64_e32 v[64:65], s[4:5]
	s_mov_b32 s43, 0
	s_waitcnt vmcnt(0)
	v_mov_b32_e32 v2, v0
	scratch_store_dwordx2 off, v[2:3], off offset:1456 ; 8-byte Folded Spill
	scratch_store_dwordx4 off, v[64:67], off offset:2208 ; 16-byte Folded Spill
	s_nop 0
	scratch_store_dwordx4 off, v[68:71], off offset:2224 ; 16-byte Folded Spill
	scratch_store_dwordx4 off, v[72:75], off offset:2240 ; 16-byte Folded Spill
	scratch_store_dwordx4 off, v[76:79], off offset:2256 ; 16-byte Folded Spill
	scratch_store_dwordx4 off, v[64:67], off offset:2272 ; 16-byte Folded Spill
	s_nop 0
	scratch_store_dwordx4 off, v[68:71], off offset:2288 ; 16-byte Folded Spill
	scratch_store_dwordx4 off, v[72:75], off offset:2304 ; 16-byte Folded Spill
	scratch_store_dwordx4 off, v[76:79], off offset:2320 ; 16-byte Folded Spill
	;; [unrolled: 5-line block ×4, first 2 shown]
	v_mov_b64_e32 v[114:115], v[78:79]
	v_mov_b64_e32 v[32:33], v[64:65]
	;; [unrolled: 1-line block ×32, first 2 shown]
	scratch_store_dwordx4 off, v[64:67], off offset:2464 ; 16-byte Folded Spill
	s_nop 0
	scratch_store_dwordx4 off, v[68:71], off offset:2480 ; 16-byte Folded Spill
	scratch_store_dwordx4 off, v[72:75], off offset:2496 ; 16-byte Folded Spill
	scratch_store_dwordx4 off, v[76:79], off offset:2512 ; 16-byte Folded Spill
	scratch_store_dwordx4 off, v[64:67], off offset:1528 ; 16-byte Folded Spill
	s_nop 0
	scratch_store_dwordx4 off, v[68:71], off offset:1544 ; 16-byte Folded Spill
	scratch_store_dwordx4 off, v[72:75], off offset:1560 ; 16-byte Folded Spill
	scratch_store_dwordx4 off, v[76:79], off offset:1576 ; 16-byte Folded Spill
	;; [unrolled: 5-line block ×13, first 2 shown]
	s_branch .LBB53_12
.LBB53_10:                              ;   in Loop: Header=BB53_12 Depth=2
	s_or_b64 exec, exec, s[6:7]
	scratch_load_dwordx4 v[80:83], off, off offset:1344
	scratch_load_dwordx4 v[96:99], off, off offset:1360
	scratch_load_dwordx4 v[100:103], off, off offset:2080 ; 16-byte Folded Reload
	scratch_load_dwordx4 v[104:107], off, off offset:2096 ; 16-byte Folded Reload
	;; [unrolled: 1-line block ×8, first 2 shown]
	s_waitcnt vmcnt(4) lgkmcnt(0)
	v_mfma_f32_32x32x16_fp8_fp8 v[100:115], v[116:117], v[80:81], v[100:115]
	s_waitcnt vmcnt(0)
	v_mfma_f32_32x32x16_fp8_fp8 v[0:15], v[116:117], v[96:97], v[0:15]
	s_nop 7
	s_nop 2
	scratch_store_dwordx4 off, v[0:3], off offset:1528 ; 16-byte Folded Spill
	s_nop 0
	scratch_store_dwordx4 off, v[4:7], off offset:1544 ; 16-byte Folded Spill
	scratch_store_dwordx4 off, v[8:11], off offset:1560 ; 16-byte Folded Spill
	;; [unrolled: 1-line block ×3, first 2 shown]
	v_mfma_f32_32x32x16_fp8_fp8 v[100:115], v[118:119], v[82:83], v[100:115]
	scratch_load_dwordx4 v[92:95], off, off offset:1376
	scratch_load_dwordx4 v[88:91], off, off offset:1392
	scratch_load_dwordx4 v[48:51], off, off offset:2400 ; 16-byte Folded Reload
	scratch_load_dwordx4 v[52:55], off, off offset:2416 ; 16-byte Folded Reload
	;; [unrolled: 1-line block ×8, first 2 shown]
	scratch_load_dwordx4 v[84:87], off, off offset:1408
	scratch_load_dwordx4 v[120:123], off, off offset:1424
	scratch_load_dwordx4 v[64:67], off, off offset:2272 ; 16-byte Folded Reload
	scratch_load_dwordx4 v[68:71], off, off offset:2288 ; 16-byte Folded Reload
	scratch_load_dwordx4 v[72:75], off, off offset:2304 ; 16-byte Folded Reload
	scratch_load_dwordx4 v[76:79], off, off offset:2320 ; 16-byte Folded Reload
	scratch_load_dwordx4 v[16:19], off, off offset:2208 ; 16-byte Folded Reload
	scratch_load_dwordx4 v[20:23], off, off offset:2224 ; 16-byte Folded Reload
	scratch_load_dwordx4 v[24:27], off, off offset:2240 ; 16-byte Folded Reload
	scratch_load_dwordx4 v[28:31], off, off offset:2256 ; 16-byte Folded Reload
	scratch_load_dwordx4 v[124:127], off, off offset:1440
	scratch_load_dwordx4 v[0:3], off, off offset:2144 ; 16-byte Folded Reload
	scratch_load_dwordx4 v[4:7], off, off offset:2160 ; 16-byte Folded Reload
	;; [unrolled: 1-line block ×4, first 2 shown]
	s_nop 0
	scratch_store_dwordx4 off, v[100:103], off offset:2080 ; 16-byte Folded Spill
	s_nop 0
	scratch_store_dwordx4 off, v[104:107], off offset:2096 ; 16-byte Folded Spill
	scratch_store_dwordx4 off, v[108:111], off offset:2112 ; 16-byte Folded Spill
	;; [unrolled: 1-line block ×3, first 2 shown]
	scratch_load_dwordx4 v[100:103], off, off offset:1528 ; 16-byte Folded Reload
	s_nop 0
	scratch_load_dwordx4 v[104:107], off, off offset:1544 ; 16-byte Folded Reload
	scratch_load_dwordx4 v[108:111], off, off offset:1560 ; 16-byte Folded Reload
	;; [unrolled: 1-line block ×3, first 2 shown]
	s_waitcnt vmcnt(27)
	v_mfma_f32_32x32x16_fp8_fp8 v[48:63], v[116:117], v[92:93], v[48:63]
	s_waitcnt vmcnt(0)
	v_mfma_f32_32x32x16_fp8_fp8 v[100:115], v[118:119], v[98:99], v[100:115]
	s_nop 7
	s_nop 2
	scratch_store_dwordx4 off, v[100:103], off offset:1528 ; 16-byte Folded Spill
	s_nop 0
	scratch_store_dwordx4 off, v[104:107], off offset:1544 ; 16-byte Folded Spill
	scratch_store_dwordx4 off, v[108:111], off offset:1560 ; 16-byte Folded Spill
	scratch_store_dwordx4 off, v[112:115], off offset:1576 ; 16-byte Folded Spill
	s_nop 0
	v_mov_b64_e32 v[110:111], v[94:95]
	v_mfma_f32_32x32x16_fp8_fp8 v[32:47], v[116:117], v[88:89], v[32:47]
	v_mov_b64_e32 v[114:115], v[86:87]
	v_mov_b64_e32 v[108:109], v[92:93]
	;; [unrolled: 1-line block ×3, first 2 shown]
	v_mfma_f32_32x32x16_fp8_fp8 v[48:63], v[118:119], v[110:111], v[48:63]
	s_nop 7
	s_nop 2
	scratch_store_dwordx4 off, v[48:51], off offset:2400 ; 16-byte Folded Spill
	s_nop 0
	scratch_store_dwordx4 off, v[52:55], off offset:2416 ; 16-byte Folded Spill
	scratch_store_dwordx4 off, v[56:59], off offset:2432 ; 16-byte Folded Spill
	;; [unrolled: 1-line block ×3, first 2 shown]
	v_mfma_f32_32x32x16_fp8_fp8 v[64:79], v[116:117], v[84:85], v[64:79]
	v_mov_b64_e32 v[52:53], v[88:89]
	v_mov_b64_e32 v[54:55], v[90:91]
	;; [unrolled: 1-line block ×4, first 2 shown]
	v_mfma_f32_32x32x16_fp8_fp8 v[16:31], v[116:117], v[120:121], v[16:31]
	v_mfma_f32_32x32x16_fp8_fp8 v[0:15], v[116:117], v[124:125], v[0:15]
	;; [unrolled: 1-line block ×3, first 2 shown]
	s_nop 7
	s_nop 2
	scratch_store_dwordx4 off, v[32:35], off offset:2336 ; 16-byte Folded Spill
	s_nop 0
	scratch_store_dwordx4 off, v[36:39], off offset:2352 ; 16-byte Folded Spill
	scratch_store_dwordx4 off, v[40:43], off offset:2368 ; 16-byte Folded Spill
	scratch_store_dwordx4 off, v[44:47], off offset:2384 ; 16-byte Folded Spill
	v_mfma_f32_32x32x16_fp8_fp8 v[64:79], v[118:119], v[114:115], v[64:79]
	s_nop 7
	s_nop 2
	scratch_store_dwordx4 off, v[64:67], off offset:2272 ; 16-byte Folded Spill
	s_nop 0
	scratch_store_dwordx4 off, v[68:71], off offset:2288 ; 16-byte Folded Spill
	scratch_store_dwordx4 off, v[72:75], off offset:2304 ; 16-byte Folded Spill
	scratch_store_dwordx4 off, v[76:79], off offset:2320 ; 16-byte Folded Spill
	v_mfma_f32_32x32x16_fp8_fp8 v[16:31], v[118:119], v[122:123], v[16:31]
	;; [unrolled: 8-line block ×3, first 2 shown]
	s_nop 7
	s_nop 2
	scratch_store_dwordx4 off, v[0:3], off offset:2144 ; 16-byte Folded Spill
	s_nop 0
	scratch_store_dwordx4 off, v[4:7], off offset:2160 ; 16-byte Folded Spill
	scratch_store_dwordx4 off, v[8:11], off offset:2176 ; 16-byte Folded Spill
	;; [unrolled: 1-line block ×3, first 2 shown]
	scratch_load_dwordx4 v[0:3], off, off offset:1792 ; 16-byte Folded Reload
	s_nop 0
	scratch_load_dwordx4 v[4:7], off, off offset:1808 ; 16-byte Folded Reload
	scratch_load_dwordx4 v[8:11], off, off offset:1824 ; 16-byte Folded Reload
	;; [unrolled: 1-line block ×4, first 2 shown]
	v_mov_b64_e32 v[30:31], v[80:81]
	v_mov_b64_e32 v[32:33], v[82:83]
	scratch_store_dwordx4 off, v[30:33], off offset:2860 ; 16-byte Folded Spill
	scratch_load_dwordx4 v[36:39], off, off offset:1728 ; 16-byte Folded Reload
	scratch_load_dwordx4 v[40:43], off, off offset:1744 ; 16-byte Folded Reload
	;; [unrolled: 1-line block ×4, first 2 shown]
	s_waitcnt vmcnt(5)
	v_mfma_f32_32x32x16_fp8_fp8 v[0:15], v[116:117], v[30:31], v[0:15]
	s_nop 7
	s_nop 2
	v_mov_b64_e32 v[30:31], v[14:15]
	v_mov_b64_e32 v[28:29], v[12:13]
	;; [unrolled: 1-line block ×8, first 2 shown]
	scratch_load_dwordx4 v[0:3], off, off offset:1664 ; 16-byte Folded Reload
	scratch_load_dwordx4 v[4:7], off, off offset:1680 ; 16-byte Folded Reload
	;; [unrolled: 1-line block ×4, first 2 shown]
	s_waitcnt vmcnt(4)
	v_mfma_f32_32x32x16_fp8_fp8 v[36:51], v[116:117], v[96:97], v[36:51]
	s_waitcnt vmcnt(0)
	v_mfma_f32_32x32x16_fp8_fp8 v[0:15], v[116:117], v[108:109], v[0:15]
	s_nop 7
	s_nop 2
	v_mov_b64_e32 v[106:107], v[14:15]
	v_mov_b64_e32 v[104:105], v[12:13]
	v_mov_b64_e32 v[102:103], v[10:11]
	v_mov_b64_e32 v[100:101], v[8:9]
	v_mov_b64_e32 v[98:99], v[6:7]
	v_mov_b64_e32 v[96:97], v[4:5]
	v_mov_b64_e32 v[94:95], v[2:3]
	v_mov_b64_e32 v[92:93], v[0:1]
	scratch_load_dwordx4 v[0:3], off, off offset:1600 ; 16-byte Folded Reload
	scratch_load_dwordx4 v[4:7], off, off offset:1616 ; 16-byte Folded Reload
	scratch_load_dwordx4 v[8:11], off, off offset:1632 ; 16-byte Folded Reload
	scratch_load_dwordx4 v[12:15], off, off offset:1648 ; 16-byte Folded Reload
	s_waitcnt vmcnt(0)
	v_mfma_f32_32x32x16_fp8_fp8 v[0:15], v[116:117], v[52:53], v[0:15]
	s_nop 7
	s_nop 2
	v_mov_b64_e32 v[86:87], v[14:15]
	v_mov_b64_e32 v[84:85], v[12:13]
	v_mov_b64_e32 v[82:83], v[10:11]
	v_mov_b64_e32 v[80:81], v[8:9]
	v_mov_b64_e32 v[78:79], v[6:7]
	v_mov_b64_e32 v[76:77], v[4:5]
	v_mov_b64_e32 v[74:75], v[2:3]
	v_mov_b64_e32 v[72:73], v[0:1]
	scratch_load_dwordx4 v[0:3], off, off offset:1984 ; 16-byte Folded Reload
	scratch_load_dwordx4 v[4:7], off, off offset:2000 ; 16-byte Folded Reload
	scratch_load_dwordx4 v[8:11], off, off offset:2016 ; 16-byte Folded Reload
	scratch_load_dwordx4 v[12:15], off, off offset:2032 ; 16-byte Folded Reload
	;; [unrolled: 16-line block ×3, first 2 shown]
	s_waitcnt vmcnt(0)
	v_mfma_f32_32x32x16_fp8_fp8 v[0:15], v[116:117], v[120:121], v[0:15]
	s_nop 7
	s_nop 2
	scratch_store_dwordx4 off, v[0:3], off offset:1464 ; 16-byte Folded Spill
	s_nop 0
	scratch_store_dwordx4 off, v[4:7], off offset:1480 ; 16-byte Folded Spill
	scratch_store_dwordx4 off, v[8:11], off offset:1496 ; 16-byte Folded Spill
	;; [unrolled: 1-line block ×3, first 2 shown]
	v_mfma_f32_32x32x16_fp8_fp8 v[16:31], v[118:119], v[32:33], v[16:31]
	scratch_load_dwordx4 v[0:3], off, off offset:1920 ; 16-byte Folded Reload
	scratch_load_dwordx4 v[4:7], off, off offset:1936 ; 16-byte Folded Reload
	;; [unrolled: 1-line block ×4, first 2 shown]
	s_nop 6
	scratch_store_dwordx4 off, v[16:19], off offset:1792 ; 16-byte Folded Spill
	s_nop 0
	scratch_store_dwordx4 off, v[20:23], off offset:1808 ; 16-byte Folded Spill
	scratch_store_dwordx4 off, v[24:27], off offset:1824 ; 16-byte Folded Spill
	;; [unrolled: 1-line block ×3, first 2 shown]
	v_mfma_f32_32x32x16_fp8_fp8 v[36:51], v[118:119], v[90:91], v[36:51]
	s_nop 7
	s_nop 2
	scratch_store_dwordx4 off, v[36:39], off offset:1728 ; 16-byte Folded Spill
	s_nop 0
	scratch_store_dwordx4 off, v[40:43], off offset:1744 ; 16-byte Folded Spill
	scratch_store_dwordx4 off, v[44:47], off offset:1760 ; 16-byte Folded Spill
	;; [unrolled: 1-line block ×3, first 2 shown]
	s_nop 1
	v_mov_b64_e32 v[48:49], v[112:113]
	v_mov_b64_e32 v[50:51], v[114:115]
	v_mfma_f32_32x32x16_fp8_fp8 v[92:107], v[118:119], v[110:111], v[92:107]
	s_nop 7
	s_nop 2
	scratch_store_dwordx4 off, v[92:95], off offset:1664 ; 16-byte Folded Spill
	s_nop 0
	scratch_store_dwordx4 off, v[96:99], off offset:1680 ; 16-byte Folded Spill
	scratch_store_dwordx4 off, v[100:103], off offset:1696 ; 16-byte Folded Spill
	scratch_store_dwordx4 off, v[104:107], off offset:1712 ; 16-byte Folded Spill
	v_mfma_f32_32x32x16_fp8_fp8 v[72:87], v[118:119], v[54:55], v[72:87]
	s_nop 7
	s_nop 2
	scratch_store_dwordx4 off, v[72:75], off offset:1600 ; 16-byte Folded Spill
	s_nop 0
	scratch_store_dwordx4 off, v[76:79], off offset:1616 ; 16-byte Folded Spill
	scratch_store_dwordx4 off, v[80:83], off offset:1632 ; 16-byte Folded Spill
	scratch_store_dwordx4 off, v[84:87], off offset:1648 ; 16-byte Folded Spill
	;; [unrolled: 8-line block ×3, first 2 shown]
	scratch_load_dwordx4 v[16:19], off, off offset:1464 ; 16-byte Folded Reload
	scratch_load_dwordx4 v[20:23], off, off offset:1480 ; 16-byte Folded Reload
	;; [unrolled: 1-line block ×4, first 2 shown]
	s_waitcnt vmcnt(24)
	v_mfma_f32_32x32x16_fp8_fp8 v[0:15], v[116:117], v[124:125], v[0:15]
	s_waitcnt vmcnt(0)
	v_mfma_f32_32x32x16_fp8_fp8 v[16:31], v[118:119], v[122:123], v[16:31]
	s_nop 7
	s_nop 2
	scratch_store_dwordx4 off, v[16:19], off offset:1464 ; 16-byte Folded Spill
	s_nop 0
	scratch_store_dwordx4 off, v[20:23], off offset:1480 ; 16-byte Folded Spill
	scratch_store_dwordx4 off, v[24:27], off offset:1496 ; 16-byte Folded Spill
	;; [unrolled: 1-line block ×3, first 2 shown]
	v_mfma_f32_32x32x16_fp8_fp8 v[0:15], v[118:119], v[126:127], v[0:15]
	s_nop 7
	s_nop 2
	scratch_store_dwordx4 off, v[0:3], off offset:1920 ; 16-byte Folded Spill
	s_nop 0
	scratch_store_dwordx4 off, v[4:7], off offset:1936 ; 16-byte Folded Spill
	scratch_store_dwordx4 off, v[8:11], off offset:1952 ; 16-byte Folded Spill
	;; [unrolled: 1-line block ×3, first 2 shown]
	scratch_load_dwordx4 v[32:35], off, off offset:2528 ; 16-byte Folded Reload
	scratch_load_dwordx4 v[36:39], off, off offset:2544 ; 16-byte Folded Reload
	;; [unrolled: 1-line block ×10, first 2 shown]
	s_waitcnt vmcnt(0)
	v_mfma_f32_32x32x16_fp8_fp8 v[56:71], v[92:93], v[88:89], v[56:71]
	v_mov_b64_e32 v[16:17], v[120:121]
	v_mov_b64_e32 v[4:5], v[124:125]
	;; [unrolled: 1-line block ×4, first 2 shown]
	v_mfma_f32_32x32x16_fp8_fp8 v[56:71], v[94:95], v[90:91], v[56:71]
	s_nop 7
	s_nop 2
	scratch_store_dwordx4 off, v[56:59], off offset:1856 ; 16-byte Folded Spill
	s_nop 0
	scratch_store_dwordx4 off, v[60:63], off offset:1872 ; 16-byte Folded Spill
	scratch_store_dwordx4 off, v[64:67], off offset:1888 ; 16-byte Folded Spill
	;; [unrolled: 1-line block ×3, first 2 shown]
	scratch_load_dwordx4 v[72:75], off, off offset:2464 ; 16-byte Folded Reload
	scratch_load_dwordx4 v[76:79], off, off offset:2480 ; 16-byte Folded Reload
	;; [unrolled: 1-line block ×4, first 2 shown]
	s_waitcnt vmcnt(0)
	v_mfma_f32_32x32x16_fp8_fp8 v[72:87], v[92:93], v[108:109], v[72:87]
	scratch_load_dwordx4 v[112:115], off, off offset:2796 ; 16-byte Folded Reload
	scratch_load_dwordx4 v[116:119], off, off offset:2812 ; 16-byte Folded Reload
	;; [unrolled: 1-line block ×4, first 2 shown]
	v_mfma_f32_32x32x16_fp8_fp8 v[72:87], v[94:95], v[110:111], v[72:87]
	scratch_load_dwordx4 v[96:99], off, off offset:2732 ; 16-byte Folded Reload
	scratch_load_dwordx4 v[100:103], off, off offset:2748 ; 16-byte Folded Reload
	scratch_load_dwordx4 v[104:107], off, off offset:2764 ; 16-byte Folded Reload
	scratch_load_dwordx4 v[108:111], off, off offset:2780 ; 16-byte Folded Reload
	scratch_load_dwordx4 v[56:59], off, off offset:2668 ; 16-byte Folded Reload
	scratch_load_dwordx4 v[60:63], off, off offset:2684 ; 16-byte Folded Reload
	scratch_load_dwordx4 v[64:67], off, off offset:2700 ; 16-byte Folded Reload
	scratch_load_dwordx4 v[68:71], off, off offset:2716 ; 16-byte Folded Reload
	v_mfma_f32_32x32x16_fp8_fp8 v[32:47], v[92:93], v[0:1], v[32:47]
	v_mfma_f32_32x32x16_fp8_fp8 v[32:47], v[94:95], v[2:3], v[32:47]
	v_mov_b64_e32 v[0:1], v[48:49]
	v_mov_b64_e32 v[2:3], v[50:51]
	s_waitcnt vmcnt(4)
	v_mfma_f32_32x32x16_fp8_fp8 v[96:111], v[92:93], v[0:1], v[96:111]
	v_mfma_f32_32x32x16_fp8_fp8 v[96:111], v[94:95], v[2:3], v[96:111]
	v_mov_b64_e32 v[0:1], v[16:17]
	v_mov_b64_e32 v[2:3], v[18:19]
	scratch_load_dwordx4 v[16:19], off, off offset:2604 ; 16-byte Folded Reload
	scratch_load_dwordx4 v[20:23], off, off offset:2620 ; 16-byte Folded Reload
	;; [unrolled: 1-line block ×4, first 2 shown]
	s_waitcnt vmcnt(4)
	v_mfma_f32_32x32x16_fp8_fp8 v[56:71], v[92:93], v[0:1], v[56:71]
	s_waitcnt vmcnt(0)
	v_mfma_f32_32x32x16_fp8_fp8 v[16:31], v[92:93], v[4:5], v[16:31]
	v_mfma_f32_32x32x16_fp8_fp8 v[56:71], v[94:95], v[2:3], v[56:71]
	v_mfma_f32_32x32x16_fp8_fp8 v[16:31], v[94:95], v[6:7], v[16:31]
	scratch_load_dwordx4 v[0:3], off, off offset:1792 ; 16-byte Folded Reload
	scratch_load_dwordx4 v[4:7], off, off offset:1808 ; 16-byte Folded Reload
	;; [unrolled: 1-line block ×4, first 2 shown]
	s_waitcnt vmcnt(0)
	scratch_store_dwordx4 off, v[12:15], off offset:496
	scratch_store_dwordx4 off, v[8:11], off offset:480
	scratch_store_dwordx4 off, v[4:7], off offset:464
	scratch_store_dwordx4 off, v[0:3], off offset:448
	scratch_load_dwordx4 v[0:3], off, off offset:1728 ; 16-byte Folded Reload
	s_nop 0
	scratch_load_dwordx4 v[4:7], off, off offset:1744 ; 16-byte Folded Reload
	scratch_load_dwordx4 v[8:11], off, off offset:1760 ; 16-byte Folded Reload
	scratch_load_dwordx4 v[12:15], off, off offset:1776 ; 16-byte Folded Reload
	s_waitcnt vmcnt(0)
	scratch_store_dwordx4 off, v[12:15], off offset:560
	scratch_store_dwordx4 off, v[8:11], off offset:544
	scratch_store_dwordx4 off, v[4:7], off offset:528
	scratch_store_dwordx4 off, v[0:3], off offset:512
	scratch_load_dwordx4 v[0:3], off, off offset:1664 ; 16-byte Folded Reload
	s_nop 0
	scratch_load_dwordx4 v[4:7], off, off offset:1680 ; 16-byte Folded Reload
	scratch_load_dwordx4 v[8:11], off, off offset:1696 ; 16-byte Folded Reload
	scratch_load_dwordx4 v[12:15], off, off offset:1712 ; 16-byte Folded Reload
	;; [unrolled: 10-line block ×6, first 2 shown]
	s_waitcnt vmcnt(0)
	scratch_store_dwordx4 off, v[12:15], off offset:880
	scratch_store_dwordx4 off, v[8:11], off offset:864
	;; [unrolled: 1-line block ×7, first 2 shown]
	scratch_store_dwordx4 off, v[32:35], off offset:2528 ; 16-byte Folded Spill
	s_nop 0
	scratch_store_dwordx4 off, v[36:39], off offset:2544 ; 16-byte Folded Spill
	scratch_store_dwordx4 off, v[40:43], off offset:2560 ; 16-byte Folded Spill
	;; [unrolled: 1-line block ×3, first 2 shown]
	scratch_store_dwordx4 off, v[32:35], off offset:896
	scratch_load_dwordx4 v[0:3], off, off offset:1856 ; 16-byte Folded Reload
	scratch_load_dwordx4 v[4:7], off, off offset:1872 ; 16-byte Folded Reload
	scratch_load_dwordx4 v[8:11], off, off offset:1888 ; 16-byte Folded Reload
	scratch_load_dwordx4 v[12:15], off, off offset:1904 ; 16-byte Folded Reload
	s_waitcnt vmcnt(0)
	scratch_store_dwordx4 off, v[12:15], off offset:1008
	scratch_store_dwordx4 off, v[8:11], off offset:992
	;; [unrolled: 1-line block ×7, first 2 shown]
	scratch_store_dwordx4 off, v[72:75], off offset:2464 ; 16-byte Folded Spill
	s_nop 0
	scratch_store_dwordx4 off, v[76:79], off offset:2480 ; 16-byte Folded Spill
	scratch_store_dwordx4 off, v[80:83], off offset:2496 ; 16-byte Folded Spill
	;; [unrolled: 1-line block ×3, first 2 shown]
	v_mfma_f32_32x32x16_fp8_fp8 v[112:127], v[92:93], v[52:53], v[112:127]
	v_mov_b64_e32 v[32:33], v[56:57]
	v_mov_b64_e32 v[34:35], v[58:59]
	;; [unrolled: 1-line block ×7, first 2 shown]
	v_mfma_f32_32x32x16_fp8_fp8 v[112:127], v[94:95], v[54:55], v[112:127]
	v_mov_b64_e32 v[46:47], v[70:71]
	v_mov_b64_e32 v[48:49], v[96:97]
	v_mov_b64_e32 v[50:51], v[98:99]
	v_mov_b64_e32 v[52:53], v[100:101]
	v_mov_b64_e32 v[54:55], v[102:103]
	v_mov_b64_e32 v[56:57], v[104:105]
	v_mov_b64_e32 v[58:59], v[106:107]
	v_mov_b64_e32 v[60:61], v[108:109]
	v_mov_b64_e32 v[62:63], v[110:111]
	s_nop 1
	v_mov_b64_e32 v[84:85], v[112:113]
	v_mov_b64_e32 v[86:87], v[114:115]
	;; [unrolled: 1-line block ×16, first 2 shown]
	scratch_store_dwordx4 off, v[72:75], off offset:1024
	scratch_store_dwordx4 off, v[96:99], off offset:1136
	;; [unrolled: 1-line block ×17, first 2 shown]
.LBB53_11:                              ;   in Loop: Header=BB53_12 Depth=2
	s_or_b64 exec, exec, s[2:3]
	scratch_load_dwordx2 v[0:1], off, off offset:1456 ; 8-byte Folded Reload
	s_addk_i32 s43, 0x400
	s_cmp_ge_u32 s43, s20
	s_waitcnt vmcnt(0)
	v_add_u32_e32 v0, 0x400, v0
	scratch_store_dwordx2 off, v[0:1], off offset:1456 ; 8-byte Folded Spill
	scratch_load_dwordx2 v[20:21], off, off offset:1592 ; 8-byte Folded Reload
	scratch_load_dword v22, off, off offset:2600 ; 4-byte Folded Reload
	s_cbranch_scc1 .LBB53_27
.LBB53_12:                              ;   Parent Loop BB53_8 Depth=1
                                        ; =>  This Loop Header: Depth=2
                                        ;       Child Loop BB53_14 Depth 3
	scratch_load_dwordx2 v[0:1], off, off offset:2592 ; 8-byte Folded Reload
	s_waitcnt vmcnt(0)
	v_add_u32_e32 v82, s43, v0
	v_cmp_gt_u32_e32 vcc, s20, v82
	s_and_saveexec_b64 s[2:3], vcc
	s_cbranch_execz .LBB53_11
; %bb.13:                               ;   in Loop: Header=BB53_12 Depth=2
	scratch_store_dwordx4 off, v[84:87], off offset:2796 ; 16-byte Folded Spill
	s_nop 0
	scratch_store_dwordx4 off, v[88:91], off offset:2812 ; 16-byte Folded Spill
	scratch_store_dwordx4 off, v[92:95], off offset:2828 ; 16-byte Folded Spill
	;; [unrolled: 1-line block ×3, first 2 shown]
	scratch_load_dwordx2 v[0:1], off, off offset:1456 ; 8-byte Folded Reload
	v_mov_b32_e32 v83, 0x540
	s_mov_b32 s5, 0
	s_mov_b64 s[6:7], 0
	s_waitcnt vmcnt(0) lgkmcnt(0)
	v_lshl_add_u64 v[80:81], s[26:27], 0, v[0:1]
	scratch_load_dwordx2 v[0:1], off, off offset:1592 ; 8-byte Folded Reload
.LBB53_14:                              ;   Parent Loop BB53_8 Depth=1
                                        ;     Parent Loop BB53_12 Depth=2
                                        ; =>    This Inner Loop Header: Depth=3
	global_load_dwordx4 v[84:87], v[80:81], off nt
	s_add_i32 s10, s5, 1
	s_cmp_gt_u32 s5, 5
	s_cselect_b64 s[8:9], -1, 0
	v_lshl_add_u64 v[80:81], v[80:81], 0, s[34:35]
	s_mov_b32 s5, s10
	s_waitcnt vmcnt(0)
	scratch_store_dwordx4 v83, v[84:87], off
	s_nop 1
	v_add_u32_e32 v84, s10, v0
	v_cmp_le_u32_e32 vcc, s22, v84
	s_or_b64 s[8:9], s[8:9], vcc
	s_and_b64 s[8:9], exec, s[8:9]
	v_add_u32_e32 v83, 16, v83
	s_or_b64 s[6:7], s[8:9], s[6:7]
	s_andn2_b64 exec, exec, s[6:7]
	s_cbranch_execnz .LBB53_14
; %bb.15:                               ;   in Loop: Header=BB53_12 Depth=2
	s_or_b64 exec, exec, s[6:7]
	v_cmp_lt_u32_e32 vcc, s21, v82
                                        ; implicit-def: $vgpr116_vgpr117
	s_and_saveexec_b64 s[6:7], vcc
	s_xor_b64 s[6:7], exec, s[6:7]
	s_cbranch_execz .LBB53_17
; %bb.16:                               ;   in Loop: Header=BB53_12 Depth=2
	global_load_dwordx4 v[116:119], v82, s[24:25]
.LBB53_17:                              ;   in Loop: Header=BB53_12 Depth=2
	s_andn2_saveexec_b64 s[6:7], s[6:7]
	s_cbranch_execz .LBB53_19
; %bb.18:                               ;   in Loop: Header=BB53_12 Depth=2
	s_waitcnt vmcnt(0)
	ds_read_b128 v[116:119], v82
.LBB53_19:                              ;   in Loop: Header=BB53_12 Depth=2
	s_or_b64 exec, exec, s[6:7]
	v_add_u32_e32 v80, s20, v82
	v_cmp_lt_u32_e32 vcc, s21, v80
                                        ; implicit-def: $vgpr0_vgpr1
	scratch_store_dwordx4 off, v[0:3], off offset:2064 ; 16-byte Folded Spill
	s_and_saveexec_b64 s[6:7], vcc
	s_xor_b64 s[6:7], exec, s[6:7]
	s_cbranch_execz .LBB53_21
; %bb.20:                               ;   in Loop: Header=BB53_12 Depth=2
	global_load_dwordx4 v[18:21], v80, s[24:25]
	s_waitcnt vmcnt(0)
	scratch_store_dwordx4 off, v[18:21], off offset:2064 ; 16-byte Folded Spill
.LBB53_21:                              ;   in Loop: Header=BB53_12 Depth=2
	s_andn2_saveexec_b64 s[6:7], s[6:7]
	s_cbranch_execz .LBB53_23
; %bb.22:                               ;   in Loop: Header=BB53_12 Depth=2
	ds_read_b128 v[18:21], v80
	s_waitcnt lgkmcnt(0)
	scratch_store_dwordx4 off, v[18:21], off offset:2064 ; 16-byte Folded Spill
.LBB53_23:                              ;   in Loop: Header=BB53_12 Depth=2
	s_or_b64 exec, exec, s[6:7]
	v_add_u32_e32 v84, s20, v80
	v_cmp_lt_u32_e32 vcc, s21, v84
                                        ; implicit-def: $vgpr0_vgpr1
	scratch_store_dwordx4 off, v[0:3], off offset:2048 ; 16-byte Folded Spill
	s_and_saveexec_b64 s[6:7], vcc
	s_xor_b64 s[6:7], exec, s[6:7]
	s_cbranch_execz .LBB53_25
; %bb.24:                               ;   in Loop: Header=BB53_12 Depth=2
	global_load_dwordx4 v[18:21], v84, s[24:25]
                                        ; implicit-def: $vgpr84
	s_waitcnt vmcnt(0)
	scratch_store_dwordx4 off, v[18:21], off offset:2048 ; 16-byte Folded Spill
.LBB53_25:                              ;   in Loop: Header=BB53_12 Depth=2
	s_or_saveexec_b64 s[6:7], s[6:7]
	scratch_store_dwordx4 off, v[48:51], off offset:2732 ; 16-byte Folded Spill
	s_nop 0
	scratch_store_dwordx4 off, v[52:55], off offset:2748 ; 16-byte Folded Spill
	scratch_store_dwordx4 off, v[56:59], off offset:2764 ; 16-byte Folded Spill
	scratch_store_dwordx4 off, v[60:63], off offset:2780 ; 16-byte Folded Spill
	scratch_store_dwordx4 off, v[32:35], off offset:2668 ; 16-byte Folded Spill
	s_nop 0
	scratch_store_dwordx4 off, v[36:39], off offset:2684 ; 16-byte Folded Spill
	scratch_store_dwordx4 off, v[40:43], off offset:2700 ; 16-byte Folded Spill
	scratch_store_dwordx4 off, v[44:47], off offset:2716 ; 16-byte Folded Spill
	;; [unrolled: 5-line block ×3, first 2 shown]
	s_xor_b64 exec, exec, s[6:7]
	s_cbranch_execz .LBB53_10
; %bb.26:                               ;   in Loop: Header=BB53_12 Depth=2
	ds_read_b128 v[0:3], v84
	s_waitcnt lgkmcnt(0)
	scratch_store_dwordx4 off, v[0:3], off offset:2048 ; 16-byte Folded Spill
	s_branch .LBB53_10
.LBB53_27:                              ;   in Loop: Header=BB53_8 Depth=1
	scratch_load_dwordx4 v[0:3], off, off offset:2400 ; 16-byte Folded Reload
	scratch_load_dwordx4 v[4:7], off, off offset:2416 ; 16-byte Folded Reload
	;; [unrolled: 1-line block ×4, first 2 shown]
	s_waitcnt vmcnt(0)
	scratch_store_dwordx4 off, v[12:15], off offset:176
	scratch_store_dwordx4 off, v[8:11], off offset:160
	scratch_store_dwordx4 off, v[4:7], off offset:144
	scratch_store_dwordx4 off, v[0:3], off offset:128
	scratch_load_dwordx4 v[0:3], off, off offset:2336 ; 16-byte Folded Reload
	s_nop 0
	scratch_load_dwordx4 v[4:7], off, off offset:2352 ; 16-byte Folded Reload
	scratch_load_dwordx4 v[8:11], off, off offset:2368 ; 16-byte Folded Reload
	scratch_load_dwordx4 v[12:15], off, off offset:2384 ; 16-byte Folded Reload
	s_waitcnt vmcnt(0)
	scratch_store_dwordx4 off, v[12:15], off offset:240
	scratch_store_dwordx4 off, v[8:11], off offset:224
	scratch_store_dwordx4 off, v[4:7], off offset:208
	scratch_store_dwordx4 off, v[0:3], off offset:192
	scratch_load_dwordx4 v[0:3], off, off offset:2272 ; 16-byte Folded Reload
	s_nop 0
	scratch_load_dwordx4 v[4:7], off, off offset:2288 ; 16-byte Folded Reload
	scratch_load_dwordx4 v[8:11], off, off offset:2304 ; 16-byte Folded Reload
	scratch_load_dwordx4 v[12:15], off, off offset:2320 ; 16-byte Folded Reload
	;; [unrolled: 10-line block ×5, first 2 shown]
	s_waitcnt vmcnt(0)
	scratch_store_dwordx4 off, v[12:15], off offset:48
	scratch_store_dwordx4 off, v[8:11], off offset:32
	;; [unrolled: 1-line block ×3, first 2 shown]
	scratch_store_dwordx4 off, v[0:3], off
	scratch_load_dwordx4 v[0:3], off, off offset:1528 ; 16-byte Folded Reload
	s_nop 0
	scratch_load_dwordx4 v[4:7], off, off offset:1544 ; 16-byte Folded Reload
	scratch_load_dwordx4 v[8:11], off, off offset:1560 ; 16-byte Folded Reload
	;; [unrolled: 1-line block ×3, first 2 shown]
	s_waitcnt vmcnt(0)
	scratch_store_dwordx4 off, v[12:15], off offset:112
	scratch_store_dwordx4 off, v[8:11], off offset:96
	;; [unrolled: 1-line block ×4, first 2 shown]
.LBB53_28:                              ;   in Loop: Header=BB53_8 Depth=1
	s_mov_b32 s2, 0
.LBB53_29:                              ;   Parent Loop BB53_8 Depth=1
                                        ; =>  This Inner Loop Header: Depth=2
	s_add_i32 s3, s2, 0
	scratch_load_dwordx4 v[0:3], off, s3 offset:48
	scratch_load_dwordx4 v[4:7], off, s3 offset:32
	scratch_load_dwordx4 v[8:11], off, s3
	scratch_load_dwordx4 v[12:15], off, s3 offset:16
	s_add_i32 s2, s2, 64
	s_cmpk_lg_i32 s2, 0x1c0
	s_waitcnt vmcnt(2)
	;;#ASMSTART
	v_add_f32 v4, v5, v4 row_shl:1 bound_ctrl:0 
	;;#ASMEND
	s_nop 0
	;;#ASMSTART
	v_add_f32 v4, v6, v4 row_shl:2 bound_ctrl:0 
	;;#ASMEND
	s_waitcnt vmcnt(1)
	;;#ASMSTART
	v_add_f32 v8, v9, v8 row_shl:1 bound_ctrl:0 
	;;#ASMEND
	;;#ASMSTART
	v_add_f32 v4, v7, v4 row_shl:3 bound_ctrl:0 
	;;#ASMEND
	s_nop 0
	;;#ASMSTART
	v_add_f32 v8, v10, v8 row_shl:2 bound_ctrl:0 
	;;#ASMEND
	;;#ASMSTART
	v_add_f32 v4, v0, v4 row_shl:8 bound_ctrl:0 
	;;#ASMEND
	s_nop 0
	;;#ASMSTART
	v_add_f32 v8, v11, v8 row_shl:3 bound_ctrl:0 
	;;#ASMEND
	;;#ASMSTART
	v_add_f32 v4, v1, v4 row_shl:9 bound_ctrl:0 
	;;#ASMEND
	s_waitcnt vmcnt(0)
	;;#ASMSTART
	v_add_f32 v8, v12, v8 row_shl:8 bound_ctrl:0 
	;;#ASMEND
	;;#ASMSTART
	v_add_f32 v4, v2, v4 row_shl:10 bound_ctrl:0 
	;;#ASMEND
	s_nop 0
	;;#ASMSTART
	v_add_f32 v8, v13, v8 row_shl:9 bound_ctrl:0 
	;;#ASMEND
	;;#ASMSTART
	v_add_f32 v4, v3, v4 row_shl:11 bound_ctrl:0 
	;;#ASMEND
	ds_bpermute_b32 v0, v22, v4 offset:208
	;;#ASMSTART
	v_add_f32 v8, v14, v8 row_shl:10 bound_ctrl:0 
	;;#ASMEND
	s_waitcnt lgkmcnt(0)
	v_add_f32_e32 v0, v4, v0
	;;#ASMSTART
	v_add_f32 v8, v15, v8 row_shl:11 bound_ctrl:0 
	;;#ASMEND
	ds_bpermute_b32 v1, v22, v8 offset:144
	ds_bpermute_b32 v0, v22, v0 offset:64
	s_waitcnt lgkmcnt(1)
	v_add_f32_e32 v1, v8, v1
	s_waitcnt lgkmcnt(0)
	v_add_f32_e32 v0, v1, v0
	scratch_store_dword off, v0, s3
	s_cbranch_scc1 .LBB53_29
; %bb.30:                               ;   in Loop: Header=BB53_8 Depth=1
	v_or_b32_e32 v0, 0x90, v22
	v_or_b32_e32 v1, 0xd0, v22
	;; [unrolled: 1-line block ×3, first 2 shown]
	s_movk_i32 s2, 0x1c0
.LBB53_31:                              ;   Parent Loop BB53_8 Depth=1
                                        ; =>  This Inner Loop Header: Depth=2
	s_add_i32 s3, s2, 0
	scratch_load_dwordx4 v[4:7], off, s3 offset:48
	scratch_load_dwordx4 v[8:11], off, s3 offset:32
	scratch_load_dwordx4 v[12:15], off, s3
	scratch_load_dwordx4 v[16:19], off, s3 offset:16
	s_add_i32 s2, s2, 64
	s_cmpk_lg_i32 s2, 0x380
	s_waitcnt vmcnt(2)
	;;#ASMSTART
	v_add_f32 v8, v9, v8 row_shl:1 bound_ctrl:0 
	;;#ASMEND
	s_nop 0
	;;#ASMSTART
	v_add_f32 v8, v10, v8 row_shl:2 bound_ctrl:0 
	;;#ASMEND
	s_waitcnt vmcnt(1)
	;;#ASMSTART
	v_add_f32 v12, v13, v12 row_shl:1 bound_ctrl:0 
	;;#ASMEND
	;;#ASMSTART
	v_add_f32 v8, v11, v8 row_shl:3 bound_ctrl:0 
	;;#ASMEND
	s_nop 0
	;;#ASMSTART
	v_add_f32 v12, v14, v12 row_shl:2 bound_ctrl:0 
	;;#ASMEND
	;;#ASMSTART
	v_add_f32 v8, v4, v8 row_shl:8 bound_ctrl:0 
	;;#ASMEND
	s_nop 0
	;;#ASMSTART
	v_add_f32 v12, v15, v12 row_shl:3 bound_ctrl:0 
	;;#ASMEND
	;;#ASMSTART
	v_add_f32 v8, v5, v8 row_shl:9 bound_ctrl:0 
	;;#ASMEND
	s_waitcnt vmcnt(0)
	;;#ASMSTART
	v_add_f32 v12, v16, v12 row_shl:8 bound_ctrl:0 
	;;#ASMEND
	;;#ASMSTART
	v_add_f32 v8, v6, v8 row_shl:10 bound_ctrl:0 
	;;#ASMEND
	s_nop 0
	;;#ASMSTART
	v_add_f32 v12, v17, v12 row_shl:9 bound_ctrl:0 
	;;#ASMEND
	;;#ASMSTART
	v_add_f32 v8, v7, v8 row_shl:11 bound_ctrl:0 
	;;#ASMEND
	ds_bpermute_b32 v3, v1, v8
	;;#ASMSTART
	v_add_f32 v12, v18, v12 row_shl:10 bound_ctrl:0 
	;;#ASMEND
	s_waitcnt lgkmcnt(0)
	v_add_f32_e32 v3, v8, v3
	;;#ASMSTART
	v_add_f32 v12, v19, v12 row_shl:11 bound_ctrl:0 
	;;#ASMEND
	ds_bpermute_b32 v4, v0, v12
	ds_bpermute_b32 v3, v2, v3
	s_waitcnt lgkmcnt(1)
	v_add_f32_e32 v4, v12, v4
	s_waitcnt lgkmcnt(0)
	v_add_f32_e32 v3, v4, v3
	scratch_store_dword off, v3, s3
	s_cbranch_scc1 .LBB53_31
; %bb.32:                               ;   in Loop: Header=BB53_8 Depth=1
	s_movk_i32 s2, 0x380
.LBB53_33:                              ;   Parent Loop BB53_8 Depth=1
                                        ; =>  This Inner Loop Header: Depth=2
	s_add_i32 s3, s2, 0
	scratch_load_dwordx4 v[4:7], off, s3 offset:48
	scratch_load_dwordx4 v[8:11], off, s3 offset:32
	scratch_load_dwordx4 v[12:15], off, s3
	scratch_load_dwordx4 v[16:19], off, s3 offset:16
	s_add_i32 s2, s2, 64
	s_cmpk_lg_i32 s2, 0x540
	s_waitcnt vmcnt(2)
	;;#ASMSTART
	v_add_f32 v8, v9, v8 row_shl:1 bound_ctrl:0 
	;;#ASMEND
	s_nop 0
	;;#ASMSTART
	v_add_f32 v8, v10, v8 row_shl:2 bound_ctrl:0 
	;;#ASMEND
	s_waitcnt vmcnt(1)
	;;#ASMSTART
	v_add_f32 v12, v13, v12 row_shl:1 bound_ctrl:0 
	;;#ASMEND
	;;#ASMSTART
	v_add_f32 v8, v11, v8 row_shl:3 bound_ctrl:0 
	;;#ASMEND
	s_nop 0
	;;#ASMSTART
	v_add_f32 v12, v14, v12 row_shl:2 bound_ctrl:0 
	;;#ASMEND
	;;#ASMSTART
	v_add_f32 v8, v4, v8 row_shl:8 bound_ctrl:0 
	;;#ASMEND
	s_nop 0
	;;#ASMSTART
	v_add_f32 v12, v15, v12 row_shl:3 bound_ctrl:0 
	;;#ASMEND
	;;#ASMSTART
	v_add_f32 v8, v5, v8 row_shl:9 bound_ctrl:0 
	;;#ASMEND
	s_waitcnt vmcnt(0)
	;;#ASMSTART
	v_add_f32 v12, v16, v12 row_shl:8 bound_ctrl:0 
	;;#ASMEND
	;;#ASMSTART
	v_add_f32 v8, v6, v8 row_shl:10 bound_ctrl:0 
	;;#ASMEND
	s_nop 0
	;;#ASMSTART
	v_add_f32 v12, v17, v12 row_shl:9 bound_ctrl:0 
	;;#ASMEND
	;;#ASMSTART
	v_add_f32 v8, v7, v8 row_shl:11 bound_ctrl:0 
	;;#ASMEND
	ds_bpermute_b32 v3, v1, v8
	;;#ASMSTART
	v_add_f32 v12, v18, v12 row_shl:10 bound_ctrl:0 
	;;#ASMEND
	s_waitcnt lgkmcnt(0)
	v_add_f32_e32 v3, v8, v3
	;;#ASMSTART
	v_add_f32 v12, v19, v12 row_shl:11 bound_ctrl:0 
	;;#ASMEND
	ds_bpermute_b32 v4, v0, v12
	ds_bpermute_b32 v3, v2, v3
	s_waitcnt lgkmcnt(1)
	v_add_f32_e32 v4, v12, v4
	s_waitcnt lgkmcnt(0)
	v_add_f32_e32 v3, v4, v3
	scratch_store_dword off, v3, s3
	s_cbranch_scc1 .LBB53_33
; %bb.34:                               ;   in Loop: Header=BB53_8 Depth=1
	s_and_saveexec_b64 s[6:7], s[0:1]
	s_cbranch_execz .LBB53_7
; %bb.35:                               ;   in Loop: Header=BB53_8 Depth=1
	scratch_load_dwordx4 v[0:3], off, off
                                        ; implicit-def: $vgpr2
	s_waitcnt vmcnt(0)
	v_mul_f32_e32 v0, s23, v0
	v_mul_f32_e32 v0, s33, v0
	v_and_b32_e32 v1, 0x7f800000, v0
	v_cmp_ne_u32_e32 vcc, s41, v1
	s_and_saveexec_b64 s[2:3], vcc
	s_xor_b64 s[2:3], exec, s[2:3]
; %bb.36:                               ;   in Loop: Header=BB53_8 Depth=1
	v_bfe_u32 v1, v0, 16, 1
	v_add3_u32 v2, v0, v1, s42
                                        ; implicit-def: $vgpr0
; %bb.37:                               ;   in Loop: Header=BB53_8 Depth=1
	s_andn2_saveexec_b64 s[2:3], s[2:3]
	s_cbranch_execz .LBB53_39
; %bb.38:                               ;   in Loop: Header=BB53_8 Depth=1
	scratch_load_dwordx2 v[2:3], off, off offset:1456 ; 8-byte Folded Reload
	v_or_b32_e32 v1, 0x10000, v0
	s_waitcnt vmcnt(0)
	v_cmp_eq_u32_sdwa vcc, v0, v3 src0_sel:WORD_0 src1_sel:DWORD
	s_nop 1
	v_cndmask_b32_e32 v2, v1, v0, vcc
.LBB53_39:                              ;   in Loop: Header=BB53_8 Depth=1
	s_or_b64 exec, exec, s[2:3]
	scratch_load_dwordx2 v[0:1], off, off offset:1456 ; 8-byte Folded Reload
	s_waitcnt vmcnt(0)
	v_mov_b32_e32 v21, v1
	v_lshl_add_u64 v[0:1], v[20:21], 1, s[28:29]
	global_store_short_d16_hi v[0:1], v2, off
	v_add_u32_e32 v2, 1, v20
	v_cmp_gt_u32_e32 vcc, s22, v2
	s_and_saveexec_b64 s[8:9], vcc
	s_cbranch_execz .LBB53_70
; %bb.40:                               ;   in Loop: Header=BB53_8 Depth=1
	scratch_load_dwordx4 v[4:7], off, off offset:64
	s_waitcnt vmcnt(0)
	v_mul_f32_e32 v3, s23, v4
	v_mul_f32_e32 v3, s33, v3
	v_and_b32_e32 v4, 0x7f800000, v3
	v_cmp_ne_u32_e64 s[2:3], s41, v4
                                        ; implicit-def: $vgpr4
	s_and_saveexec_b64 s[10:11], s[2:3]
	s_xor_b64 s[2:3], exec, s[10:11]
; %bb.41:                               ;   in Loop: Header=BB53_8 Depth=1
	v_bfe_u32 v4, v3, 16, 1
	v_add3_u32 v4, v3, v4, s42
                                        ; implicit-def: $vgpr3
; %bb.42:                               ;   in Loop: Header=BB53_8 Depth=1
	s_andn2_saveexec_b64 s[10:11], s[2:3]
	s_cbranch_execz .LBB53_44
; %bb.43:                               ;   in Loop: Header=BB53_8 Depth=1
	scratch_load_dwordx2 v[6:7], off, off offset:1456 ; 8-byte Folded Reload
	v_or_b32_e32 v4, 0x10000, v3
	s_waitcnt vmcnt(0)
	v_cmp_eq_u32_sdwa s[2:3], v3, v7 src0_sel:WORD_0 src1_sel:DWORD
	s_nop 1
	v_cndmask_b32_e64 v4, v4, v3, s[2:3]
.LBB53_44:                              ;   in Loop: Header=BB53_8 Depth=1
	s_or_b64 exec, exec, s[10:11]
	v_add_u32_e32 v3, 2, v20
	v_cmp_gt_u32_e64 s[2:3], s22, v3
	global_store_short_d16_hi v[0:1], v4, off offset:2
	s_and_b64 exec, exec, s[2:3]
	s_cbranch_execz .LBB53_70
; %bb.45:                               ;   in Loop: Header=BB53_8 Depth=1
	scratch_load_dwordx4 v[4:7], off, off offset:128
	s_waitcnt vmcnt(0)
	v_mul_f32_e32 v3, s23, v4
	v_mul_f32_e32 v3, s33, v3
	v_and_b32_e32 v4, 0x7f800000, v3
	v_cmp_ne_u32_e64 s[2:3], s41, v4
                                        ; implicit-def: $vgpr4
	s_and_saveexec_b64 s[10:11], s[2:3]
	s_xor_b64 s[2:3], exec, s[10:11]
; %bb.46:                               ;   in Loop: Header=BB53_8 Depth=1
	v_bfe_u32 v4, v3, 16, 1
	v_add3_u32 v4, v3, v4, s42
                                        ; implicit-def: $vgpr3
; %bb.47:                               ;   in Loop: Header=BB53_8 Depth=1
	s_andn2_saveexec_b64 s[10:11], s[2:3]
	s_cbranch_execz .LBB53_49
; %bb.48:                               ;   in Loop: Header=BB53_8 Depth=1
	scratch_load_dwordx2 v[6:7], off, off offset:1456 ; 8-byte Folded Reload
	v_or_b32_e32 v4, 0x10000, v3
	s_waitcnt vmcnt(0)
	v_cmp_eq_u32_sdwa s[2:3], v3, v7 src0_sel:WORD_0 src1_sel:DWORD
	s_nop 1
	v_cndmask_b32_e64 v4, v4, v3, s[2:3]
.LBB53_49:                              ;   in Loop: Header=BB53_8 Depth=1
	s_or_b64 exec, exec, s[10:11]
	v_add_u32_e32 v3, 3, v20
	v_cmp_gt_u32_e64 s[2:3], s22, v3
	global_store_short_d16_hi v[0:1], v4, off offset:4
	s_and_b64 exec, exec, s[2:3]
	;; [unrolled: 31-line block ×5, first 2 shown]
	s_cbranch_execz .LBB53_70
; %bb.65:                               ;   in Loop: Header=BB53_8 Depth=1
	scratch_load_dwordx4 v[4:7], off, off offset:384
	s_waitcnt vmcnt(0)
	v_mul_f32_e32 v3, s23, v4
	v_mul_f32_e32 v3, s33, v3
	v_and_b32_e32 v4, 0x7f800000, v3
	v_cmp_ne_u32_e64 s[2:3], s41, v4
                                        ; implicit-def: $vgpr4
	s_and_saveexec_b64 s[10:11], s[2:3]
	s_xor_b64 s[2:3], exec, s[10:11]
; %bb.66:                               ;   in Loop: Header=BB53_8 Depth=1
	v_bfe_u32 v4, v3, 16, 1
	v_add3_u32 v4, v3, v4, s42
                                        ; implicit-def: $vgpr3
; %bb.67:                               ;   in Loop: Header=BB53_8 Depth=1
	s_andn2_saveexec_b64 s[10:11], s[2:3]
	s_cbranch_execz .LBB53_69
; %bb.68:                               ;   in Loop: Header=BB53_8 Depth=1
	scratch_load_dwordx2 v[6:7], off, off offset:1456 ; 8-byte Folded Reload
	v_or_b32_e32 v4, 0x10000, v3
	s_waitcnt vmcnt(0)
	v_cmp_eq_u32_sdwa s[2:3], v3, v7 src0_sel:WORD_0 src1_sel:DWORD
	s_nop 1
	v_cndmask_b32_e64 v4, v4, v3, s[2:3]
.LBB53_69:                              ;   in Loop: Header=BB53_8 Depth=1
	s_or_b64 exec, exec, s[10:11]
	global_store_short_d16_hi v[0:1], v4, off offset:12
.LBB53_70:                              ;   in Loop: Header=BB53_8 Depth=1
	s_or_b64 exec, exec, s[8:9]
	scratch_load_dwordx4 v[4:7], off, off offset:448
	s_waitcnt vmcnt(0)
	v_mul_f32_e32 v0, s23, v4
	v_mul_f32_e32 v1, s33, v0
	v_and_b32_e32 v0, 0x7f800000, v1
	v_cmp_ne_u32_e64 s[2:3], s41, v0
                                        ; implicit-def: $vgpr0
	s_and_saveexec_b64 s[8:9], s[2:3]
	s_xor_b64 s[2:3], exec, s[8:9]
; %bb.71:                               ;   in Loop: Header=BB53_8 Depth=1
	v_bfe_u32 v0, v1, 16, 1
	v_add3_u32 v0, v1, v0, s42
                                        ; implicit-def: $vgpr1
; %bb.72:                               ;   in Loop: Header=BB53_8 Depth=1
	s_andn2_saveexec_b64 s[8:9], s[2:3]
	s_cbranch_execz .LBB53_74
; %bb.73:                               ;   in Loop: Header=BB53_8 Depth=1
	scratch_load_dwordx2 v[4:5], off, off offset:1456 ; 8-byte Folded Reload
	v_or_b32_e32 v0, 0x10000, v1
	s_waitcnt vmcnt(0)
	v_cmp_eq_u32_sdwa s[2:3], v1, v5 src0_sel:WORD_0 src1_sel:DWORD
	s_nop 1
	v_cndmask_b32_e64 v0, v0, v1, s[2:3]
.LBB53_74:                              ;   in Loop: Header=BB53_8 Depth=1
	s_or_b64 exec, exec, s[8:9]
	scratch_load_dwordx2 v[4:5], off, off offset:1456 ; 8-byte Folded Reload
	s_waitcnt vmcnt(0)
	v_add_u32_e32 v4, s22, v20
	v_mov_b32_e32 v9, v5
	v_lshl_add_u64 v[4:5], v[4:5], 1, s[28:29]
	global_store_short_d16_hi v[4:5], v0, off
	s_and_saveexec_b64 s[8:9], vcc
	s_cbranch_execz .LBB53_105
; %bb.75:                               ;   in Loop: Header=BB53_8 Depth=1
	scratch_load_dwordx4 v[4:7], off, off offset:512
	s_waitcnt vmcnt(0)
	v_mul_f32_e32 v0, s23, v4
	v_mul_f32_e32 v1, s33, v0
	v_and_b32_e32 v0, 0x7f800000, v1
	v_cmp_ne_u32_e64 s[2:3], s41, v0
                                        ; implicit-def: $vgpr0
	s_and_saveexec_b64 s[10:11], s[2:3]
	s_xor_b64 s[2:3], exec, s[10:11]
; %bb.76:                               ;   in Loop: Header=BB53_8 Depth=1
	v_bfe_u32 v0, v1, 16, 1
	v_add3_u32 v0, v1, v0, s42
                                        ; implicit-def: $vgpr1
; %bb.77:                               ;   in Loop: Header=BB53_8 Depth=1
	s_andn2_saveexec_b64 s[10:11], s[2:3]
; %bb.78:                               ;   in Loop: Header=BB53_8 Depth=1
	v_or_b32_e32 v0, 0x10000, v1
	v_cmp_eq_u32_sdwa s[2:3], v1, v9 src0_sel:WORD_0 src1_sel:DWORD
	s_nop 1
	v_cndmask_b32_e64 v0, v0, v1, s[2:3]
; %bb.79:                               ;   in Loop: Header=BB53_8 Depth=1
	s_or_b64 exec, exec, s[10:11]
	v_mov_b32_e32 v5, v9
	v_add_u32_e32 v4, s22, v2
	v_lshl_add_u64 v[4:5], v[4:5], 1, s[28:29]
	global_store_short_d16_hi v[4:5], v0, off
	v_add_u32_e32 v0, 2, v20
	v_cmp_gt_u32_e64 s[2:3], s22, v0
	s_and_b64 exec, exec, s[2:3]
	s_cbranch_execz .LBB53_105
; %bb.80:                               ;   in Loop: Header=BB53_8 Depth=1
	scratch_load_dwordx4 v[4:7], off, off offset:576
	s_waitcnt vmcnt(0)
	v_mul_f32_e32 v1, s23, v4
	v_mul_f32_e32 v3, s33, v1
	v_and_b32_e32 v1, 0x7f800000, v3
	v_cmp_ne_u32_e64 s[2:3], s41, v1
                                        ; implicit-def: $vgpr1
	s_and_saveexec_b64 s[10:11], s[2:3]
	s_xor_b64 s[2:3], exec, s[10:11]
; %bb.81:                               ;   in Loop: Header=BB53_8 Depth=1
	v_bfe_u32 v1, v3, 16, 1
	v_add3_u32 v1, v3, v1, s42
                                        ; implicit-def: $vgpr3
; %bb.82:                               ;   in Loop: Header=BB53_8 Depth=1
	s_andn2_saveexec_b64 s[10:11], s[2:3]
; %bb.83:                               ;   in Loop: Header=BB53_8 Depth=1
	v_or_b32_e32 v1, 0x10000, v3
	v_cmp_eq_u32_sdwa s[2:3], v3, v9 src0_sel:WORD_0 src1_sel:DWORD
	s_nop 1
	v_cndmask_b32_e64 v1, v1, v3, s[2:3]
; %bb.84:                               ;   in Loop: Header=BB53_8 Depth=1
	s_or_b64 exec, exec, s[10:11]
	v_mov_b32_e32 v5, v9
	v_add_u32_e32 v4, s22, v0
	v_add_u32_e32 v0, 3, v20
	v_lshl_add_u64 v[4:5], v[4:5], 1, s[28:29]
	v_cmp_gt_u32_e64 s[2:3], s22, v0
	global_store_short_d16_hi v[4:5], v1, off
	s_and_b64 exec, exec, s[2:3]
	s_cbranch_execz .LBB53_105
; %bb.85:                               ;   in Loop: Header=BB53_8 Depth=1
	scratch_load_dwordx4 v[4:7], off, off offset:640
	s_waitcnt vmcnt(0)
	v_mul_f32_e32 v1, s23, v4
	v_mul_f32_e32 v3, s33, v1
	v_and_b32_e32 v1, 0x7f800000, v3
	v_cmp_ne_u32_e64 s[2:3], s41, v1
                                        ; implicit-def: $vgpr1
	s_and_saveexec_b64 s[10:11], s[2:3]
	s_xor_b64 s[2:3], exec, s[10:11]
; %bb.86:                               ;   in Loop: Header=BB53_8 Depth=1
	v_bfe_u32 v1, v3, 16, 1
	v_add3_u32 v1, v3, v1, s42
                                        ; implicit-def: $vgpr3
; %bb.87:                               ;   in Loop: Header=BB53_8 Depth=1
	s_andn2_saveexec_b64 s[10:11], s[2:3]
; %bb.88:                               ;   in Loop: Header=BB53_8 Depth=1
	v_or_b32_e32 v1, 0x10000, v3
	v_cmp_eq_u32_sdwa s[2:3], v3, v9 src0_sel:WORD_0 src1_sel:DWORD
	s_nop 1
	v_cndmask_b32_e64 v1, v1, v3, s[2:3]
; %bb.89:                               ;   in Loop: Header=BB53_8 Depth=1
	s_or_b64 exec, exec, s[10:11]
	v_mov_b32_e32 v5, v9
	v_add_u32_e32 v4, s22, v0
	v_add_u32_e32 v0, 4, v20
	v_lshl_add_u64 v[4:5], v[4:5], 1, s[28:29]
	v_cmp_gt_u32_e64 s[2:3], s22, v0
	global_store_short_d16_hi v[4:5], v1, off
	;; [unrolled: 31-line block ×4, first 2 shown]
	s_and_b64 exec, exec, s[2:3]
	s_cbranch_execz .LBB53_105
; %bb.100:                              ;   in Loop: Header=BB53_8 Depth=1
	scratch_load_dwordx4 v[4:7], off, off offset:832
	s_waitcnt vmcnt(0)
	v_mul_f32_e32 v1, s23, v4
	v_mul_f32_e32 v3, s33, v1
	v_and_b32_e32 v1, 0x7f800000, v3
	v_cmp_ne_u32_e64 s[2:3], s41, v1
                                        ; implicit-def: $vgpr1
	s_and_saveexec_b64 s[10:11], s[2:3]
	s_xor_b64 s[2:3], exec, s[10:11]
; %bb.101:                              ;   in Loop: Header=BB53_8 Depth=1
	v_bfe_u32 v1, v3, 16, 1
	v_add3_u32 v1, v3, v1, s42
                                        ; implicit-def: $vgpr3
; %bb.102:                              ;   in Loop: Header=BB53_8 Depth=1
	s_andn2_saveexec_b64 s[10:11], s[2:3]
; %bb.103:                              ;   in Loop: Header=BB53_8 Depth=1
	v_or_b32_e32 v1, 0x10000, v3
	v_cmp_eq_u32_sdwa s[2:3], v3, v9 src0_sel:WORD_0 src1_sel:DWORD
	s_nop 1
	v_cndmask_b32_e64 v1, v1, v3, s[2:3]
; %bb.104:                              ;   in Loop: Header=BB53_8 Depth=1
	s_or_b64 exec, exec, s[10:11]
	v_mov_b32_e32 v5, v9
	v_add_u32_e32 v4, s22, v0
	v_lshl_add_u64 v[4:5], v[4:5], 1, s[28:29]
	global_store_short_d16_hi v[4:5], v1, off
.LBB53_105:                             ;   in Loop: Header=BB53_8 Depth=1
	s_or_b64 exec, exec, s[8:9]
	scratch_load_dwordx4 v[4:7], off, off offset:896
	s_waitcnt vmcnt(0)
	v_mul_f32_e32 v0, s23, v4
	v_mul_f32_e32 v1, s33, v0
	v_and_b32_e32 v0, 0x7f800000, v1
	v_cmp_ne_u32_e64 s[2:3], s41, v0
                                        ; implicit-def: $vgpr0
	s_and_saveexec_b64 s[8:9], s[2:3]
	s_xor_b64 s[2:3], exec, s[8:9]
; %bb.106:                              ;   in Loop: Header=BB53_8 Depth=1
	v_bfe_u32 v0, v1, 16, 1
	v_add3_u32 v0, v1, v0, s42
                                        ; implicit-def: $vgpr1
; %bb.107:                              ;   in Loop: Header=BB53_8 Depth=1
	s_andn2_saveexec_b64 s[8:9], s[2:3]
; %bb.108:                              ;   in Loop: Header=BB53_8 Depth=1
	v_or_b32_e32 v0, 0x10000, v1
	v_cmp_eq_u32_sdwa s[2:3], v1, v9 src0_sel:WORD_0 src1_sel:DWORD
	s_nop 1
	v_cndmask_b32_e64 v0, v0, v1, s[2:3]
; %bb.109:                              ;   in Loop: Header=BB53_8 Depth=1
	s_or_b64 exec, exec, s[8:9]
	v_add_u32_e32 v8, s39, v20
	v_mov_b32_e32 v1, v9
	v_lshl_add_u64 v[4:5], v[8:9], 1, s[28:29]
	scratch_store_dwordx2 off, v[0:1], off offset:1456 ; 8-byte Folded Spill
	global_store_short_d16_hi v[4:5], v0, off
	s_and_b64 exec, exec, vcc
	s_cbranch_execz .LBB53_7
; %bb.110:                              ;   in Loop: Header=BB53_8 Depth=1
	scratch_load_dwordx4 v[4:7], off, off offset:960
	s_waitcnt vmcnt(0)
	v_mul_f32_e32 v0, s23, v4
	v_mul_f32_e32 v1, s33, v0
	v_and_b32_e32 v0, 0x7f800000, v1
	v_cmp_ne_u32_e32 vcc, s41, v0
                                        ; implicit-def: $vgpr0
	s_and_saveexec_b64 s[2:3], vcc
	s_xor_b64 s[2:3], exec, s[2:3]
; %bb.111:                              ;   in Loop: Header=BB53_8 Depth=1
	v_bfe_u32 v0, v1, 16, 1
	v_add3_u32 v0, v1, v0, s42
                                        ; implicit-def: $vgpr1
; %bb.112:                              ;   in Loop: Header=BB53_8 Depth=1
	s_andn2_saveexec_b64 s[2:3], s[2:3]
	s_cbranch_execz .LBB53_114
; %bb.113:                              ;   in Loop: Header=BB53_8 Depth=1
	scratch_load_dwordx2 v[4:5], off, off offset:1456 ; 8-byte Folded Reload
	v_or_b32_e32 v0, 0x10000, v1
	s_waitcnt vmcnt(0)
	v_cmp_eq_u32_sdwa vcc, v1, v5 src0_sel:WORD_0 src1_sel:DWORD
	s_nop 1
	v_cndmask_b32_e32 v0, v0, v1, vcc
.LBB53_114:                             ;   in Loop: Header=BB53_8 Depth=1
	s_or_b64 exec, exec, s[2:3]
	scratch_load_dwordx2 v[4:5], off, off offset:1456 ; 8-byte Folded Reload
	v_add_u32_e32 v2, s39, v2
	s_waitcnt vmcnt(0)
	v_mov_b32_e32 v3, v5
	v_mov_b32_e32 v1, v5
	v_lshl_add_u64 v[2:3], v[2:3], 1, s[28:29]
	scratch_store_dwordx2 off, v[0:1], off offset:1456 ; 8-byte Folded Spill
	global_store_short_d16_hi v[2:3], v0, off
	v_add_u32_e32 v0, 2, v20
	v_cmp_gt_u32_e32 vcc, s22, v0
	s_and_b64 exec, exec, vcc
	s_cbranch_execz .LBB53_7
; %bb.115:                              ;   in Loop: Header=BB53_8 Depth=1
	scratch_load_dwordx4 v[2:5], off, off offset:1024
	s_waitcnt vmcnt(0)
	v_mul_f32_e32 v1, s23, v2
	v_mul_f32_e32 v2, s33, v1
	v_and_b32_e32 v1, 0x7f800000, v2
	v_cmp_ne_u32_e32 vcc, s41, v1
                                        ; implicit-def: $vgpr1
	s_and_saveexec_b64 s[2:3], vcc
	s_xor_b64 s[2:3], exec, s[2:3]
; %bb.116:                              ;   in Loop: Header=BB53_8 Depth=1
	v_bfe_u32 v1, v2, 16, 1
	v_add3_u32 v1, v2, v1, s42
                                        ; implicit-def: $vgpr2
; %bb.117:                              ;   in Loop: Header=BB53_8 Depth=1
	s_andn2_saveexec_b64 s[2:3], s[2:3]
	s_cbranch_execz .LBB53_119
; %bb.118:                              ;   in Loop: Header=BB53_8 Depth=1
	scratch_load_dwordx2 v[4:5], off, off offset:1456 ; 8-byte Folded Reload
	v_or_b32_e32 v1, 0x10000, v2
	s_waitcnt vmcnt(0)
	v_cmp_eq_u32_sdwa vcc, v2, v5 src0_sel:WORD_0 src1_sel:DWORD
	s_nop 1
	v_cndmask_b32_e32 v1, v1, v2, vcc
.LBB53_119:                             ;   in Loop: Header=BB53_8 Depth=1
	s_or_b64 exec, exec, s[2:3]
	scratch_load_dwordx2 v[2:3], off, off offset:1456 ; 8-byte Folded Reload
	v_add_u32_e32 v4, s39, v0
	v_add_u32_e32 v0, 3, v20
	v_cmp_gt_u32_e32 vcc, s22, v0
	s_waitcnt vmcnt(0)
	v_mov_b32_e32 v5, v3
	scratch_store_dwordx2 off, v[2:3], off offset:1456 ; 8-byte Folded Spill
	v_lshl_add_u64 v[2:3], v[4:5], 1, s[28:29]
	global_store_short_d16_hi v[2:3], v1, off
	s_and_b64 exec, exec, vcc
	s_cbranch_execz .LBB53_7
; %bb.120:                              ;   in Loop: Header=BB53_8 Depth=1
	scratch_load_dwordx4 v[2:5], off, off offset:1088
	s_waitcnt vmcnt(0)
	v_mul_f32_e32 v1, s23, v2
	v_mul_f32_e32 v2, s33, v1
	v_and_b32_e32 v1, 0x7f800000, v2
	v_cmp_ne_u32_e32 vcc, s41, v1
                                        ; implicit-def: $vgpr1
	s_and_saveexec_b64 s[2:3], vcc
	s_xor_b64 s[2:3], exec, s[2:3]
; %bb.121:                              ;   in Loop: Header=BB53_8 Depth=1
	v_bfe_u32 v1, v2, 16, 1
	v_add3_u32 v1, v2, v1, s42
                                        ; implicit-def: $vgpr2
; %bb.122:                              ;   in Loop: Header=BB53_8 Depth=1
	s_andn2_saveexec_b64 s[2:3], s[2:3]
	s_cbranch_execz .LBB53_124
; %bb.123:                              ;   in Loop: Header=BB53_8 Depth=1
	scratch_load_dwordx2 v[4:5], off, off offset:1456 ; 8-byte Folded Reload
	v_or_b32_e32 v1, 0x10000, v2
	s_waitcnt vmcnt(0)
	v_cmp_eq_u32_sdwa vcc, v2, v5 src0_sel:WORD_0 src1_sel:DWORD
	s_nop 1
	v_cndmask_b32_e32 v1, v1, v2, vcc
.LBB53_124:                             ;   in Loop: Header=BB53_8 Depth=1
	s_or_b64 exec, exec, s[2:3]
	scratch_load_dwordx2 v[2:3], off, off offset:1456 ; 8-byte Folded Reload
	v_add_u32_e32 v4, s39, v0
	v_add_u32_e32 v0, 4, v20
	v_cmp_gt_u32_e32 vcc, s22, v0
	s_waitcnt vmcnt(0)
	v_mov_b32_e32 v5, v3
	scratch_store_dwordx2 off, v[2:3], off offset:1456 ; 8-byte Folded Spill
	v_lshl_add_u64 v[2:3], v[4:5], 1, s[28:29]
	global_store_short_d16_hi v[2:3], v1, off
	;; [unrolled: 37-line block ×4, first 2 shown]
	s_and_b64 exec, exec, vcc
	s_cbranch_execz .LBB53_7
; %bb.135:                              ;   in Loop: Header=BB53_8 Depth=1
	scratch_load_dwordx4 v[2:5], off, off offset:1280
	s_waitcnt vmcnt(0)
	v_mul_f32_e32 v1, s23, v2
	v_mul_f32_e32 v2, s33, v1
	v_and_b32_e32 v1, 0x7f800000, v2
	v_cmp_ne_u32_e32 vcc, s41, v1
                                        ; implicit-def: $vgpr1
	s_and_saveexec_b64 s[2:3], vcc
	s_xor_b64 s[2:3], exec, s[2:3]
; %bb.136:                              ;   in Loop: Header=BB53_8 Depth=1
	v_bfe_u32 v1, v2, 16, 1
	v_add3_u32 v1, v2, v1, s42
                                        ; implicit-def: $vgpr2
; %bb.137:                              ;   in Loop: Header=BB53_8 Depth=1
	s_andn2_saveexec_b64 s[2:3], s[2:3]
	s_cbranch_execz .LBB53_6
; %bb.138:                              ;   in Loop: Header=BB53_8 Depth=1
	scratch_load_dwordx2 v[4:5], off, off offset:1456 ; 8-byte Folded Reload
	v_or_b32_e32 v1, 0x10000, v2
	s_waitcnt vmcnt(0)
	v_cmp_eq_u32_sdwa vcc, v2, v5 src0_sel:WORD_0 src1_sel:DWORD
	s_nop 1
	v_cndmask_b32_e32 v1, v1, v2, vcc
	s_branch .LBB53_6
.LBB53_139:
	s_endpgm
	.section	.rodata,"a",@progbits
	.p2align	6, 0x0
	.amdhsa_kernel _Z13wvSplitKQ_hf_I14__hip_bfloat16N3c1013Float8_e4m3fnELi64ELi7ELi16ELi16ELi1ELi3EEviiiPKT0_S5_PT_PKfS9_ii
		.amdhsa_group_segment_fixed_size 65536
		.amdhsa_private_segment_fixed_size 2944
		.amdhsa_kernarg_size 64
		.amdhsa_user_sgpr_count 2
		.amdhsa_user_sgpr_dispatch_ptr 0
		.amdhsa_user_sgpr_queue_ptr 0
		.amdhsa_user_sgpr_kernarg_segment_ptr 1
		.amdhsa_user_sgpr_dispatch_id 0
		.amdhsa_user_sgpr_kernarg_preload_length 0
		.amdhsa_user_sgpr_kernarg_preload_offset 0
		.amdhsa_user_sgpr_private_segment_size 0
		.amdhsa_uses_dynamic_stack 0
		.amdhsa_enable_private_segment 1
		.amdhsa_system_sgpr_workgroup_id_x 1
		.amdhsa_system_sgpr_workgroup_id_y 0
		.amdhsa_system_sgpr_workgroup_id_z 0
		.amdhsa_system_sgpr_workgroup_info 0
		.amdhsa_system_vgpr_workitem_id 1
		.amdhsa_next_free_vgpr 128
		.amdhsa_next_free_sgpr 44
		.amdhsa_accum_offset 128
		.amdhsa_reserve_vcc 1
		.amdhsa_float_round_mode_32 0
		.amdhsa_float_round_mode_16_64 0
		.amdhsa_float_denorm_mode_32 3
		.amdhsa_float_denorm_mode_16_64 3
		.amdhsa_dx10_clamp 1
		.amdhsa_ieee_mode 1
		.amdhsa_fp16_overflow 0
		.amdhsa_tg_split 0
		.amdhsa_exception_fp_ieee_invalid_op 0
		.amdhsa_exception_fp_denorm_src 0
		.amdhsa_exception_fp_ieee_div_zero 0
		.amdhsa_exception_fp_ieee_overflow 0
		.amdhsa_exception_fp_ieee_underflow 0
		.amdhsa_exception_fp_ieee_inexact 0
		.amdhsa_exception_int_div_zero 0
	.end_amdhsa_kernel
	.section	.text._Z13wvSplitKQ_hf_I14__hip_bfloat16N3c1013Float8_e4m3fnELi64ELi7ELi16ELi16ELi1ELi3EEviiiPKT0_S5_PT_PKfS9_ii,"axG",@progbits,_Z13wvSplitKQ_hf_I14__hip_bfloat16N3c1013Float8_e4m3fnELi64ELi7ELi16ELi16ELi1ELi3EEviiiPKT0_S5_PT_PKfS9_ii,comdat
.Lfunc_end53:
	.size	_Z13wvSplitKQ_hf_I14__hip_bfloat16N3c1013Float8_e4m3fnELi64ELi7ELi16ELi16ELi1ELi3EEviiiPKT0_S5_PT_PKfS9_ii, .Lfunc_end53-_Z13wvSplitKQ_hf_I14__hip_bfloat16N3c1013Float8_e4m3fnELi64ELi7ELi16ELi16ELi1ELi3EEviiiPKT0_S5_PT_PKfS9_ii
                                        ; -- End function
	.section	.AMDGPU.csdata,"",@progbits
; Kernel info:
; codeLenInByte = 10148
; NumSgprs: 50
; NumVgprs: 128
; NumAgprs: 0
; TotalNumVgprs: 128
; ScratchSize: 2944
; MemoryBound: 1
; FloatMode: 240
; IeeeMode: 1
; LDSByteSize: 65536 bytes/workgroup (compile time only)
; SGPRBlocks: 6
; VGPRBlocks: 15
; NumSGPRsForWavesPerEU: 50
; NumVGPRsForWavesPerEU: 128
; AccumOffset: 128
; Occupancy: 4
; WaveLimiterHint : 1
; COMPUTE_PGM_RSRC2:SCRATCH_EN: 1
; COMPUTE_PGM_RSRC2:USER_SGPR: 2
; COMPUTE_PGM_RSRC2:TRAP_HANDLER: 0
; COMPUTE_PGM_RSRC2:TGID_X_EN: 1
; COMPUTE_PGM_RSRC2:TGID_Y_EN: 0
; COMPUTE_PGM_RSRC2:TGID_Z_EN: 0
; COMPUTE_PGM_RSRC2:TIDIG_COMP_CNT: 1
; COMPUTE_PGM_RSRC3_GFX90A:ACCUM_OFFSET: 31
; COMPUTE_PGM_RSRC3_GFX90A:TG_SPLIT: 0
	.section	.text._Z17wvSplitKQ_hf_sml_I14__hip_bfloat16N3c1013Float8_e4m3fnELi64ELi4ELi16ELi16ELi1ELi4EEviiiPKT0_S5_PT_PKfS9_ii,"axG",@progbits,_Z17wvSplitKQ_hf_sml_I14__hip_bfloat16N3c1013Float8_e4m3fnELi64ELi4ELi16ELi16ELi1ELi4EEviiiPKT0_S5_PT_PKfS9_ii,comdat
	.protected	_Z17wvSplitKQ_hf_sml_I14__hip_bfloat16N3c1013Float8_e4m3fnELi64ELi4ELi16ELi16ELi1ELi4EEviiiPKT0_S5_PT_PKfS9_ii ; -- Begin function _Z17wvSplitKQ_hf_sml_I14__hip_bfloat16N3c1013Float8_e4m3fnELi64ELi4ELi16ELi16ELi1ELi4EEviiiPKT0_S5_PT_PKfS9_ii
	.globl	_Z17wvSplitKQ_hf_sml_I14__hip_bfloat16N3c1013Float8_e4m3fnELi64ELi4ELi16ELi16ELi1ELi4EEviiiPKT0_S5_PT_PKfS9_ii
	.p2align	8
	.type	_Z17wvSplitKQ_hf_sml_I14__hip_bfloat16N3c1013Float8_e4m3fnELi64ELi4ELi16ELi16ELi1ELi4EEviiiPKT0_S5_PT_PKfS9_ii,@function
_Z17wvSplitKQ_hf_sml_I14__hip_bfloat16N3c1013Float8_e4m3fnELi64ELi4ELi16ELi16ELi1ELi4EEviiiPKT0_S5_PT_PKfS9_ii: ; @_Z17wvSplitKQ_hf_sml_I14__hip_bfloat16N3c1013Float8_e4m3fnELi64ELi4ELi16ELi16ELi1ELi4EEviiiPKT0_S5_PT_PKfS9_ii
; %bb.0:
	s_load_dwordx4 s[4:7], s[0:1], 0x0
	s_load_dwordx4 s[8:11], s[0:1], 0x28
	v_bfe_u32 v1, v0, 10, 10
	v_and_b32_e32 v0, 0x3ff, v0
	v_lshlrev_b32_e32 v104, 4, v0
	s_waitcnt lgkmcnt(0)
	s_lshl_b32 s3, s4, 2
	v_lshl_add_u32 v2, v1, 10, v104
	s_min_i32 s3, s3, 0x10000
	v_cmp_gt_u32_e32 vcc, s3, v2
	s_and_saveexec_b64 s[12:13], vcc
	s_cbranch_execz .LBB54_3
; %bb.1:
	s_load_dwordx2 s[14:15], s[0:1], 0x18
	s_mov_b64 s[16:17], 0
.LBB54_2:                               ; =>This Inner Loop Header: Depth=1
	s_waitcnt lgkmcnt(0)
	global_load_dwordx4 v[4:7], v2, s[14:15]
	s_waitcnt vmcnt(0)
	ds_write_b128 v2, v[4:7]
	v_add_u32_e32 v2, 0x4000, v2
	v_cmp_le_u32_e32 vcc, s3, v2
	s_or_b64 s[16:17], vcc, s[16:17]
	s_andn2_b64 exec, exec, s[16:17]
	s_cbranch_execnz .LBB54_2
.LBB54_3:
	s_or_b64 exec, exec, s[12:13]
	s_load_dwordx2 s[14:15], s[0:1], 0x38
	s_waitcnt lgkmcnt(0)
	s_barrier
	v_cmp_gt_u32_e32 vcc, s14, v1
	s_and_saveexec_b64 s[12:13], vcc
	s_cbranch_execz .LBB54_81
; %bb.4:
	s_mul_i32 s2, s2, s14
	v_add_u32_e32 v1, s2, v1
	v_lshlrev_b32_e32 v12, 2, v1
	v_cmp_gt_u32_e32 vcc, s6, v12
	s_and_b64 exec, exec, vcc
	s_cbranch_execz .LBB54_81
; %bb.5:
	s_mul_i32 s20, s14, s15
	s_cmp_lg_u32 s4, 0
	s_load_dword s7, s[8:9], 0x0
	s_load_dword s24, s[10:11], 0x0
	s_load_dwordx2 s[2:3], s[0:1], 0x10
	s_load_dwordx2 s[12:13], s[0:1], 0x20
	s_mov_b32 s9, 0
	s_cselect_b64 s[10:11], -1, 0
	s_lshl_b32 s25, s20, 2
	s_mul_i32 s20, s20, s5
	v_cmp_eq_u32_e64 s[0:1], 0, v0
	s_mov_b32 s8, s5
	s_lshl_b32 s14, s5, 1
	s_mul_i32 s16, s5, 3
	v_mul_lo_u32 v0, s5, v1
	s_lshl_b32 s5, s20, 2
	s_mov_b32 s20, s9
	s_mov_b32 s21, s9
	v_lshl_add_u32 v110, v0, 2, v104
	s_mov_b32 s22, s9
	s_mov_b32 s23, s9
	v_mov_b64_e32 v[0:1], s[20:21]
	v_mov_b64_e32 v[2:3], s[22:23]
	scratch_store_dwordx4 off, v[0:3], off offset:1928 ; 16-byte Folded Spill
	v_mad_u64_u32 v[108:109], s[18:19], s4, 3, v[104:105]
	s_nop 0
	v_mbcnt_lo_u32_b32 v0, -1, 0
	v_mbcnt_hi_u32_b32 v0, -1, v0
	v_lshlrev_b32_e32 v0, 2, v0
	s_mov_b32 s15, s9
	s_mov_b32 s17, s9
	v_lshl_add_u32 v105, s4, 1, v104
	v_add_u32_e32 v109, s4, v104
	s_mov_b64 s[18:19], 0
	v_mov_b32_e32 v107, 0
	v_and_b32_e32 v120, 0x100, v0
	s_mov_b32 s26, 0x7f800000
	s_movk_i32 s27, 0x7fff
	scratch_store_dword off, v120, off offset:1944 ; 4-byte Folded Spill
	s_branch .LBB54_8
.LBB54_6:                               ;   in Loop: Header=BB54_8 Depth=1
	s_or_b64 exec, exec, s[22:23]
	v_add_u32_e32 v106, 3, v106
	v_lshl_add_u64 v[2:3], v[106:107], 1, s[12:13]
	global_store_short_d16_hi v[2:3], v0, off
.LBB54_7:                               ;   in Loop: Header=BB54_8 Depth=1
	s_or_b64 exec, exec, s[20:21]
	s_waitcnt vmcnt(0)
	v_add_u32_e32 v12, s25, v12
	v_cmp_le_u32_e32 vcc, s6, v12
	s_or_b64 s[18:19], vcc, s[18:19]
	v_add_u32_e32 v110, s5, v110
	s_andn2_b64 exec, exec, s[18:19]
	s_cbranch_execz .LBB54_81
.LBB54_8:                               ; =>This Loop Header: Depth=1
                                        ;     Child Loop BB54_11 Depth 2
                                        ;     Child Loop BB54_15 Depth 2
	scratch_load_dwordx4 v[0:3], off, off offset:1928 ; 16-byte Folded Reload
	s_and_b64 vcc, exec, s[10:11]
	scratch_store_dwordx2 off, v[12:13], off offset:1920 ; 8-byte Folded Spill
	s_waitcnt vmcnt(1)
	scratch_store_dwordx4 off, v[0:3], off offset:48
	scratch_store_dwordx4 off, v[0:3], off offset:32
	;; [unrolled: 1-line block ×3, first 2 shown]
	scratch_store_dwordx4 off, v[0:3], off
	scratch_store_dwordx4 off, v[0:3], off offset:304
	scratch_store_dwordx4 off, v[0:3], off offset:288
	scratch_store_dwordx4 off, v[0:3], off offset:272
	scratch_store_dwordx4 off, v[0:3], off offset:256
	scratch_store_dwordx4 off, v[0:3], off offset:560
	scratch_store_dwordx4 off, v[0:3], off offset:544
	scratch_store_dwordx4 off, v[0:3], off offset:528
	scratch_store_dwordx4 off, v[0:3], off offset:512
	scratch_store_dwordx4 off, v[0:3], off offset:816
	scratch_store_dwordx4 off, v[0:3], off offset:800
	scratch_store_dwordx4 off, v[0:3], off offset:784
	scratch_store_dwordx4 off, v[0:3], off offset:768
	scratch_store_dwordx4 off, v[0:3], off offset:112
	scratch_store_dwordx4 off, v[0:3], off offset:96
	scratch_store_dwordx4 off, v[0:3], off offset:80
	scratch_store_dwordx4 off, v[0:3], off offset:64
	scratch_store_dwordx4 off, v[0:3], off offset:368
	scratch_store_dwordx4 off, v[0:3], off offset:352
	scratch_store_dwordx4 off, v[0:3], off offset:336
	scratch_store_dwordx4 off, v[0:3], off offset:320
	scratch_store_dwordx4 off, v[0:3], off offset:624
	scratch_store_dwordx4 off, v[0:3], off offset:608
	scratch_store_dwordx4 off, v[0:3], off offset:592
	scratch_store_dwordx4 off, v[0:3], off offset:576
	scratch_store_dwordx4 off, v[0:3], off offset:880
	scratch_store_dwordx4 off, v[0:3], off offset:864
	scratch_store_dwordx4 off, v[0:3], off offset:848
	scratch_store_dwordx4 off, v[0:3], off offset:832
	scratch_store_dwordx4 off, v[0:3], off offset:176
	scratch_store_dwordx4 off, v[0:3], off offset:160
	scratch_store_dwordx4 off, v[0:3], off offset:144
	scratch_store_dwordx4 off, v[0:3], off offset:128
	scratch_store_dwordx4 off, v[0:3], off offset:432
	scratch_store_dwordx4 off, v[0:3], off offset:416
	scratch_store_dwordx4 off, v[0:3], off offset:400
	scratch_store_dwordx4 off, v[0:3], off offset:384
	scratch_store_dwordx4 off, v[0:3], off offset:688
	scratch_store_dwordx4 off, v[0:3], off offset:672
	scratch_store_dwordx4 off, v[0:3], off offset:656
	scratch_store_dwordx4 off, v[0:3], off offset:640
	scratch_store_dwordx4 off, v[0:3], off offset:944
	scratch_store_dwordx4 off, v[0:3], off offset:928
	scratch_store_dwordx4 off, v[0:3], off offset:912
	scratch_store_dwordx4 off, v[0:3], off offset:896
	scratch_store_dwordx4 off, v[0:3], off offset:240
	scratch_store_dwordx4 off, v[0:3], off offset:224
	scratch_store_dwordx4 off, v[0:3], off offset:208
	scratch_store_dwordx4 off, v[0:3], off offset:192
	scratch_store_dwordx4 off, v[0:3], off offset:496
	scratch_store_dwordx4 off, v[0:3], off offset:480
	scratch_store_dwordx4 off, v[0:3], off offset:464
	scratch_store_dwordx4 off, v[0:3], off offset:448
	scratch_store_dwordx4 off, v[0:3], off offset:752
	scratch_store_dwordx4 off, v[0:3], off offset:736
	scratch_store_dwordx4 off, v[0:3], off offset:720
	scratch_store_dwordx4 off, v[0:3], off offset:704
	scratch_store_dwordx4 off, v[0:3], off offset:1008
	scratch_store_dwordx4 off, v[0:3], off offset:992
	scratch_store_dwordx4 off, v[0:3], off offset:976
	scratch_store_dwordx4 off, v[0:3], off offset:960
	s_cbranch_vccz .LBB54_14
; %bb.9:                                ;   in Loop: Header=BB54_8 Depth=1
	v_mov_b32_e32 v112, 0
	v_mov_b32_e32 v0, v112
	v_mov_b32_e32 v1, v112
	v_mov_b32_e32 v2, v112
	v_mov_b32_e32 v3, v112
	v_mov_b32_e32 v4, v112
	v_mov_b32_e32 v5, v112
	v_mov_b32_e32 v6, v112
	v_mov_b32_e32 v7, v112
	v_mov_b32_e32 v8, v112
	v_mov_b32_e32 v9, v112
	v_mov_b32_e32 v10, v112
	v_mov_b32_e32 v11, v112
	v_mov_b32_e32 v12, v112
	v_mov_b32_e32 v13, v112
	v_mov_b32_e32 v14, v112
	v_mov_b32_e32 v15, v112
	v_mov_b32_e32 v58, v112
	v_mov_b32_e32 v59, v112
	v_mov_b32_e32 v60, v112
	v_mov_b32_e32 v61, v112
	v_mov_b32_e32 v62, v112
	v_mov_b32_e32 v63, v112
	v_mov_b32_e32 v64, v112
	v_mov_b32_e32 v65, v112
	v_mov_b32_e32 v66, v112
	v_mov_b32_e32 v67, v112
	v_mov_b32_e32 v68, v112
	v_mov_b32_e32 v69, v112
	v_mov_b32_e32 v70, v112
	v_mov_b32_e32 v71, v112
	v_mov_b32_e32 v72, v112
	v_mov_b32_e32 v73, v112
	scratch_store_dwordx4 off, v[0:3], off offset:1472 ; 16-byte Folded Spill
	s_nop 0
	scratch_store_dwordx4 off, v[4:7], off offset:1488 ; 16-byte Folded Spill
	scratch_store_dwordx4 off, v[8:11], off offset:1504 ; 16-byte Folded Spill
	scratch_store_dwordx4 off, v[12:15], off offset:1520 ; 16-byte Folded Spill
	scratch_store_dwordx4 off, v[0:3], off offset:1600 ; 16-byte Folded Spill
	s_nop 0
	scratch_store_dwordx4 off, v[4:7], off offset:1616 ; 16-byte Folded Spill
	scratch_store_dwordx4 off, v[8:11], off offset:1632 ; 16-byte Folded Spill
	scratch_store_dwordx4 off, v[12:15], off offset:1648 ; 16-byte Folded Spill
	scratch_store_dwordx4 off, v[0:3], off offset:1728 ; 16-byte Folded Spill
	s_nop 0
	scratch_store_dwordx4 off, v[4:7], off offset:1744 ; 16-byte Folded Spill
	scratch_store_dwordx4 off, v[8:11], off offset:1760 ; 16-byte Folded Spill
	scratch_store_dwordx4 off, v[12:15], off offset:1776 ; 16-byte Folded Spill
	scratch_store_dwordx4 off, v[58:61], off offset:1024 ; 16-byte Folded Spill
	s_nop 0
	scratch_store_dwordx4 off, v[62:65], off offset:1040 ; 16-byte Folded Spill
	scratch_store_dwordx4 off, v[66:69], off offset:1056 ; 16-byte Folded Spill
	scratch_store_dwordx4 off, v[70:73], off offset:1072 ; 16-byte Folded Spill
	scratch_store_dwordx4 off, v[58:61], off offset:1088 ; 16-byte Folded Spill
	s_nop 0
	scratch_store_dwordx4 off, v[62:65], off offset:1104 ; 16-byte Folded Spill
	scratch_store_dwordx4 off, v[66:69], off offset:1120 ; 16-byte Folded Spill
	scratch_store_dwordx4 off, v[70:73], off offset:1136 ; 16-byte Folded Spill
	scratch_store_dwordx4 off, v[58:61], off offset:1152 ; 16-byte Folded Spill
	s_nop 0
	scratch_store_dwordx4 off, v[62:65], off offset:1168 ; 16-byte Folded Spill
	scratch_store_dwordx4 off, v[66:69], off offset:1184 ; 16-byte Folded Spill
	scratch_store_dwordx4 off, v[70:73], off offset:1200 ; 16-byte Folded Spill
	s_mov_b32 s22, 0
	v_mov_b32_e32 v113, v112
	v_mov_b32_e32 v114, v112
	;; [unrolled: 1-line block ×49, first 2 shown]
	scratch_store_dwordx4 off, v[60:63], off offset:1216 ; 16-byte Folded Spill
	s_nop 0
	scratch_store_dwordx4 off, v[64:67], off offset:1232 ; 16-byte Folded Spill
	scratch_store_dwordx4 off, v[68:71], off offset:1248 ; 16-byte Folded Spill
	scratch_store_dwordx4 off, v[72:75], off offset:1264 ; 16-byte Folded Spill
	scratch_store_dwordx4 off, v[40:43], off offset:1280 ; 16-byte Folded Spill
	s_nop 0
	scratch_store_dwordx4 off, v[44:47], off offset:1296 ; 16-byte Folded Spill
	scratch_store_dwordx4 off, v[48:51], off offset:1312 ; 16-byte Folded Spill
	scratch_store_dwordx4 off, v[52:55], off offset:1328 ; 16-byte Folded Spill
	;; [unrolled: 5-line block ×7, first 2 shown]
	s_branch .LBB54_11
.LBB54_10:                              ;   in Loop: Header=BB54_11 Depth=2
	s_or_b64 exec, exec, s[20:21]
	scratch_load_dwordx4 v[80:83], off, off offset:1728 ; 16-byte Folded Reload
	scratch_load_dwordx4 v[84:87], off, off offset:1744 ; 16-byte Folded Reload
	;; [unrolled: 1-line block ×12, first 2 shown]
	s_waitcnt vmcnt(15) lgkmcnt(0)
	v_mfma_f32_32x32x16_fp8_fp8 v[0:15], v[44:45], v[32:33], v[0:15]
	s_addk_i32 s22, 0x400
	s_cmp_ge_u32 s22, s4
	v_mfma_f32_32x32x16_fp8_fp8 v[0:15], v[46:47], v[34:35], v[0:15]
	v_mfma_f32_32x32x16_fp8_fp8 v[112:127], v[40:41], v[32:33], v[112:127]
	;; [unrolled: 1-line block ×3, first 2 shown]
	s_waitcnt vmcnt(8)
	v_mfma_f32_32x32x16_fp8_fp8 v[80:95], v[44:45], v[28:29], v[80:95]
	s_waitcnt vmcnt(4)
	v_mfma_f32_32x32x16_fp8_fp8 v[64:79], v[44:45], v[24:25], v[64:79]
	;; [unrolled: 2-line block ×3, first 2 shown]
	v_mfma_f32_32x32x16_fp8_fp8 v[80:95], v[46:47], v[30:31], v[80:95]
	s_nop 7
	s_nop 2
	scratch_store_dwordx4 off, v[80:83], off offset:1728 ; 16-byte Folded Spill
	s_nop 0
	scratch_store_dwordx4 off, v[84:87], off offset:1744 ; 16-byte Folded Spill
	scratch_store_dwordx4 off, v[88:91], off offset:1760 ; 16-byte Folded Spill
	scratch_store_dwordx4 off, v[92:95], off offset:1776 ; 16-byte Folded Spill
	v_mfma_f32_32x32x16_fp8_fp8 v[64:79], v[46:47], v[26:27], v[64:79]
	s_nop 7
	s_nop 2
	scratch_store_dwordx4 off, v[64:67], off offset:1600 ; 16-byte Folded Spill
	s_nop 0
	scratch_store_dwordx4 off, v[68:71], off offset:1616 ; 16-byte Folded Spill
	scratch_store_dwordx4 off, v[72:75], off offset:1632 ; 16-byte Folded Spill
	scratch_store_dwordx4 off, v[76:79], off offset:1648 ; 16-byte Folded Spill
	;; [unrolled: 8-line block ×3, first 2 shown]
	scratch_load_dwordx4 v[76:79], off, off offset:1792 ; 16-byte Folded Reload
	scratch_load_dwordx4 v[80:83], off, off offset:1808 ; 16-byte Folded Reload
	;; [unrolled: 1-line block ×4, first 2 shown]
	s_nop 0
	scratch_load_dwordx4 v[60:63], off, off offset:1664 ; 16-byte Folded Reload
	scratch_load_dwordx4 v[64:67], off, off offset:1680 ; 16-byte Folded Reload
	;; [unrolled: 1-line block ×8, first 2 shown]
	s_waitcnt vmcnt(8)
	v_mfma_f32_32x32x16_fp8_fp8 v[76:91], v[40:41], v[28:29], v[76:91]
	s_waitcnt vmcnt(4)
	v_mfma_f32_32x32x16_fp8_fp8 v[60:75], v[40:41], v[24:25], v[60:75]
	;; [unrolled: 2-line block ×3, first 2 shown]
	v_mfma_f32_32x32x16_fp8_fp8 v[76:91], v[42:43], v[30:31], v[76:91]
	s_nop 7
	s_nop 2
	scratch_store_dwordx4 off, v[76:79], off offset:1792 ; 16-byte Folded Spill
	s_nop 0
	scratch_store_dwordx4 off, v[80:83], off offset:1808 ; 16-byte Folded Spill
	scratch_store_dwordx4 off, v[84:87], off offset:1824 ; 16-byte Folded Spill
	scratch_store_dwordx4 off, v[88:91], off offset:1840 ; 16-byte Folded Spill
	v_mfma_f32_32x32x16_fp8_fp8 v[60:75], v[42:43], v[26:27], v[60:75]
	s_nop 7
	s_nop 2
	scratch_store_dwordx4 off, v[60:63], off offset:1664 ; 16-byte Folded Spill
	s_nop 0
	scratch_store_dwordx4 off, v[64:67], off offset:1680 ; 16-byte Folded Spill
	scratch_store_dwordx4 off, v[68:71], off offset:1696 ; 16-byte Folded Spill
	scratch_store_dwordx4 off, v[72:75], off offset:1712 ; 16-byte Folded Spill
	;; [unrolled: 8-line block ×3, first 2 shown]
	scratch_load_dwordx4 v[88:91], off, off offset:1408 ; 16-byte Folded Reload
	scratch_load_dwordx4 v[92:95], off, off offset:1424 ; 16-byte Folded Reload
	;; [unrolled: 1-line block ×16, first 2 shown]
	s_waitcnt vmcnt(12)
	v_mfma_f32_32x32x16_fp8_fp8 v[88:103], v[36:37], v[32:33], v[88:103]
	s_waitcnt vmcnt(8)
	v_mfma_f32_32x32x16_fp8_fp8 v[72:87], v[36:37], v[28:29], v[72:87]
	;; [unrolled: 2-line block ×4, first 2 shown]
	v_mfma_f32_32x32x16_fp8_fp8 v[88:103], v[38:39], v[34:35], v[88:103]
	s_nop 7
	s_nop 2
	scratch_store_dwordx4 off, v[88:91], off offset:1408 ; 16-byte Folded Spill
	s_nop 0
	scratch_store_dwordx4 off, v[92:95], off offset:1424 ; 16-byte Folded Spill
	scratch_store_dwordx4 off, v[96:99], off offset:1440 ; 16-byte Folded Spill
	scratch_store_dwordx4 off, v[100:103], off offset:1456 ; 16-byte Folded Spill
	v_mfma_f32_32x32x16_fp8_fp8 v[72:87], v[38:39], v[30:31], v[72:87]
	s_nop 7
	s_nop 2
	scratch_store_dwordx4 off, v[72:75], off offset:1344 ; 16-byte Folded Spill
	s_nop 0
	scratch_store_dwordx4 off, v[76:79], off offset:1360 ; 16-byte Folded Spill
	scratch_store_dwordx4 off, v[80:83], off offset:1376 ; 16-byte Folded Spill
	scratch_store_dwordx4 off, v[84:87], off offset:1392 ; 16-byte Folded Spill
	;; [unrolled: 8-line block ×4, first 2 shown]
	scratch_load_dwordx4 v[36:39], off, off offset:1152 ; 16-byte Folded Reload
	s_nop 0
	scratch_load_dwordx4 v[40:43], off, off offset:1168 ; 16-byte Folded Reload
	scratch_load_dwordx4 v[44:47], off, off offset:1184 ; 16-byte Folded Reload
	scratch_load_dwordx4 v[48:51], off, off offset:1200 ; 16-byte Folded Reload
	s_waitcnt vmcnt(0)
	v_mfma_f32_32x32x16_fp8_fp8 v[36:51], v[16:17], v[32:33], v[36:51]
	v_mfma_f32_32x32x16_fp8_fp8 v[36:51], v[18:19], v[34:35], v[36:51]
	s_nop 7
	s_nop 2
	scratch_store_dwordx4 off, v[36:39], off offset:1152 ; 16-byte Folded Spill
	s_nop 0
	scratch_store_dwordx4 off, v[40:43], off offset:1168 ; 16-byte Folded Spill
	scratch_store_dwordx4 off, v[44:47], off offset:1184 ; 16-byte Folded Spill
	scratch_store_dwordx4 off, v[48:51], off offset:1200 ; 16-byte Folded Spill
	scratch_load_dwordx4 v[32:35], off, off offset:1088 ; 16-byte Folded Reload
	s_nop 0
	scratch_load_dwordx4 v[36:39], off, off offset:1104 ; 16-byte Folded Reload
	scratch_load_dwordx4 v[40:43], off, off offset:1120 ; 16-byte Folded Reload
	scratch_load_dwordx4 v[44:47], off, off offset:1136 ; 16-byte Folded Reload
	s_waitcnt vmcnt(0)
	v_mfma_f32_32x32x16_fp8_fp8 v[32:47], v[16:17], v[28:29], v[32:47]
	v_mfma_f32_32x32x16_fp8_fp8 v[32:47], v[18:19], v[30:31], v[32:47]
	s_nop 7
	s_nop 2
	scratch_store_dwordx4 off, v[32:35], off offset:1088 ; 16-byte Folded Spill
	s_nop 0
	scratch_store_dwordx4 off, v[36:39], off offset:1104 ; 16-byte Folded Spill
	scratch_store_dwordx4 off, v[40:43], off offset:1120 ; 16-byte Folded Spill
	scratch_store_dwordx4 off, v[44:47], off offset:1136 ; 16-byte Folded Spill
	;; [unrolled: 15-line block ×3, first 2 shown]
	scratch_load_dwordx4 v[24:27], off, off offset:1856 ; 16-byte Folded Reload
	s_nop 0
	scratch_load_dwordx4 v[28:31], off, off offset:1872 ; 16-byte Folded Reload
	scratch_load_dwordx4 v[32:35], off, off offset:1888 ; 16-byte Folded Reload
	;; [unrolled: 1-line block ×3, first 2 shown]
	s_waitcnt vmcnt(0)
	v_mfma_f32_32x32x16_fp8_fp8 v[24:39], v[16:17], v[20:21], v[24:39]
	v_mfma_f32_32x32x16_fp8_fp8 v[24:39], v[18:19], v[22:23], v[24:39]
	s_cbranch_scc1 .LBB54_13
.LBB54_11:                              ;   Parent Loop BB54_8 Depth=1
                                        ; =>  This Inner Loop Header: Depth=2
	s_nop 7
	s_nop 1
	scratch_store_dwordx4 off, v[24:27], off offset:1856 ; 16-byte Folded Spill
	s_nop 0
	scratch_store_dwordx4 off, v[28:31], off offset:1872 ; 16-byte Folded Spill
	scratch_store_dwordx4 off, v[32:35], off offset:1888 ; 16-byte Folded Spill
	scratch_store_dwordx4 off, v[36:39], off offset:1904 ; 16-byte Folded Spill
	v_add_u32_e32 v48, s22, v104
	v_mov_b64_e32 v[16:17], 0
	v_cmp_gt_u32_e32 vcc, s4, v48
	v_mov_b64_e32 v[18:19], v[16:17]
	v_mov_b64_e32 v[36:37], v[16:17]
	v_mov_b64_e32 v[38:39], v[16:17]
	v_mov_b64_e32 v[40:41], v[16:17]
	v_mov_b64_e32 v[42:43], v[16:17]
	v_mov_b64_e32 v[44:45], v[16:17]
	v_mov_b64_e32 v[46:47], v[16:17]
	v_mov_b64_e32 v[20:21], v[16:17]
	v_mov_b64_e32 v[22:23], v[16:17]
	v_mov_b64_e32 v[24:25], v[16:17]
	v_mov_b64_e32 v[26:27], v[16:17]
	v_mov_b64_e32 v[28:29], v[16:17]
	v_mov_b64_e32 v[30:31], v[16:17]
	v_mov_b64_e32 v[32:33], v[16:17]
	v_mov_b64_e32 v[34:35], v[16:17]
	s_and_saveexec_b64 s[20:21], vcc
	s_cbranch_execz .LBB54_10
; %bb.12:                               ;   in Loop: Header=BB54_11 Depth=2
	v_add_u32_e32 v106, s22, v110
	s_waitcnt lgkmcnt(0)
	v_lshl_add_u64 v[16:17], s[2:3], 0, v[106:107]
	v_lshl_add_u64 v[18:19], v[16:17], 0, s[8:9]
	;; [unrolled: 1-line block ×4, first 2 shown]
	global_load_dwordx4 v[32:35], v106, s[2:3] nt
	global_load_dwordx4 v[28:31], v[18:19], off nt
	global_load_dwordx4 v[24:27], v[20:21], off nt
	ds_read_b128 v[44:47], v48
	global_load_dwordx4 v[20:23], v[16:17], off nt
	v_add_u32_e32 v16, s22, v109
	v_add_u32_e32 v17, s22, v105
	ds_read_b128 v[40:43], v16
	ds_read_b128 v[36:39], v17
	v_add_u32_e32 v16, s22, v108
	ds_read_b128 v[16:19], v16
	s_branch .LBB54_10
.LBB54_13:                              ;   in Loop: Header=BB54_8 Depth=1
	scratch_store_dwordx4 off, v[12:15], off offset:48
	scratch_store_dwordx4 off, v[8:11], off offset:32
	;; [unrolled: 1-line block ×3, first 2 shown]
	scratch_store_dwordx4 off, v[0:3], off
	scratch_load_dwordx4 v[0:3], off, off offset:1728 ; 16-byte Folded Reload
	s_nop 0
	scratch_load_dwordx4 v[4:7], off, off offset:1744 ; 16-byte Folded Reload
	scratch_load_dwordx4 v[8:11], off, off offset:1760 ; 16-byte Folded Reload
	scratch_load_dwordx4 v[12:15], off, off offset:1776 ; 16-byte Folded Reload
	s_waitcnt vmcnt(0)
	scratch_store_dwordx4 off, v[12:15], off offset:112
	scratch_store_dwordx4 off, v[8:11], off offset:96
	scratch_store_dwordx4 off, v[4:7], off offset:80
	scratch_store_dwordx4 off, v[0:3], off offset:64
	scratch_load_dwordx4 v[0:3], off, off offset:1600 ; 16-byte Folded Reload
	s_nop 0
	scratch_load_dwordx4 v[4:7], off, off offset:1616 ; 16-byte Folded Reload
	scratch_load_dwordx4 v[8:11], off, off offset:1632 ; 16-byte Folded Reload
	scratch_load_dwordx4 v[12:15], off, off offset:1648 ; 16-byte Folded Reload
	s_waitcnt vmcnt(0)
	scratch_store_dwordx4 off, v[12:15], off offset:176
	scratch_store_dwordx4 off, v[8:11], off offset:160
	scratch_store_dwordx4 off, v[4:7], off offset:144
	scratch_store_dwordx4 off, v[0:3], off offset:128
	;; [unrolled: 10-line block ×3, first 2 shown]
	scratch_store_dwordx4 off, v[124:127], off offset:304
	scratch_store_dwordx4 off, v[120:123], off offset:288
	;; [unrolled: 1-line block ×4, first 2 shown]
	scratch_load_dwordx4 v[0:3], off, off offset:1792 ; 16-byte Folded Reload
	scratch_load_dwordx4 v[4:7], off, off offset:1808 ; 16-byte Folded Reload
	;; [unrolled: 1-line block ×4, first 2 shown]
	s_waitcnt vmcnt(0)
	scratch_store_dwordx4 off, v[12:15], off offset:368
	scratch_store_dwordx4 off, v[8:11], off offset:352
	scratch_store_dwordx4 off, v[4:7], off offset:336
	scratch_store_dwordx4 off, v[0:3], off offset:320
	scratch_load_dwordx4 v[0:3], off, off offset:1664 ; 16-byte Folded Reload
	s_nop 0
	scratch_load_dwordx4 v[4:7], off, off offset:1680 ; 16-byte Folded Reload
	scratch_load_dwordx4 v[8:11], off, off offset:1696 ; 16-byte Folded Reload
	scratch_load_dwordx4 v[12:15], off, off offset:1712 ; 16-byte Folded Reload
	s_waitcnt vmcnt(0)
	scratch_store_dwordx4 off, v[12:15], off offset:432
	scratch_store_dwordx4 off, v[8:11], off offset:416
	scratch_store_dwordx4 off, v[4:7], off offset:400
	scratch_store_dwordx4 off, v[0:3], off offset:384
	scratch_load_dwordx4 v[0:3], off, off offset:1536 ; 16-byte Folded Reload
	s_nop 0
	scratch_load_dwordx4 v[4:7], off, off offset:1552 ; 16-byte Folded Reload
	scratch_load_dwordx4 v[8:11], off, off offset:1568 ; 16-byte Folded Reload
	scratch_load_dwordx4 v[12:15], off, off offset:1584 ; 16-byte Folded Reload
	;; [unrolled: 10-line block ×9, first 2 shown]
	s_waitcnt vmcnt(0)
	scratch_store_dwordx4 off, v[12:15], off offset:944
	scratch_store_dwordx4 off, v[8:11], off offset:928
	;; [unrolled: 1-line block ×8, first 2 shown]
	scratch_load_dword v120, off, off offset:1944 ; 4-byte Folded Reload
.LBB54_14:                              ;   in Loop: Header=BB54_8 Depth=1
	v_mov_b32_e32 v121, v107
	v_mov_b32_e32 v119, v110
	;; [unrolled: 1-line block ×6, first 2 shown]
	s_mov_b32 s20, 0
.LBB54_15:                              ;   Parent Loop BB54_8 Depth=1
                                        ; =>  This Inner Loop Header: Depth=2
	s_add_i32 s21, s20, 0
	scratch_load_dwordx4 v[0:3], off, s21 offset:48
	scratch_load_dwordx4 v[4:7], off, s21 offset:32
	scratch_load_dwordx4 v[8:11], off, s21
	scratch_load_dwordx4 v[12:15], off, s21 offset:16
	s_add_i32 s20, s20, 64
	s_cmpk_lg_i32 s20, 0x100
	s_waitcnt vmcnt(2)
	;;#ASMSTART
	v_add_f32 v4, v5, v4 row_shl:1 bound_ctrl:0 
	;;#ASMEND
	s_nop 0
	;;#ASMSTART
	v_add_f32 v4, v6, v4 row_shl:2 bound_ctrl:0 
	;;#ASMEND
	s_waitcnt vmcnt(1)
	;;#ASMSTART
	v_add_f32 v8, v9, v8 row_shl:1 bound_ctrl:0 
	;;#ASMEND
	;;#ASMSTART
	v_add_f32 v4, v7, v4 row_shl:3 bound_ctrl:0 
	;;#ASMEND
	s_nop 0
	;;#ASMSTART
	v_add_f32 v8, v10, v8 row_shl:2 bound_ctrl:0 
	;;#ASMEND
	;;#ASMSTART
	v_add_f32 v4, v0, v4 row_shl:8 bound_ctrl:0 
	;;#ASMEND
	s_nop 0
	;;#ASMSTART
	v_add_f32 v8, v11, v8 row_shl:3 bound_ctrl:0 
	;;#ASMEND
	;;#ASMSTART
	v_add_f32 v4, v1, v4 row_shl:9 bound_ctrl:0 
	;;#ASMEND
	s_waitcnt vmcnt(0)
	;;#ASMSTART
	v_add_f32 v8, v12, v8 row_shl:8 bound_ctrl:0 
	;;#ASMEND
	;;#ASMSTART
	v_add_f32 v4, v2, v4 row_shl:10 bound_ctrl:0 
	;;#ASMEND
	s_nop 0
	;;#ASMSTART
	v_add_f32 v8, v13, v8 row_shl:9 bound_ctrl:0 
	;;#ASMEND
	;;#ASMSTART
	v_add_f32 v4, v3, v4 row_shl:11 bound_ctrl:0 
	;;#ASMEND
	ds_bpermute_b32 v0, v120, v4 offset:208
	;;#ASMSTART
	v_add_f32 v8, v14, v8 row_shl:10 bound_ctrl:0 
	;;#ASMEND
	s_waitcnt lgkmcnt(0)
	v_add_f32_e32 v0, v4, v0
	;;#ASMSTART
	v_add_f32 v8, v15, v8 row_shl:11 bound_ctrl:0 
	;;#ASMEND
	ds_bpermute_b32 v1, v120, v8 offset:144
	ds_bpermute_b32 v0, v120, v0 offset:64
	s_waitcnt lgkmcnt(1)
	v_add_f32_e32 v1, v8, v1
	s_waitcnt lgkmcnt(0)
	v_add_f32_e32 v0, v1, v0
	scratch_store_dword off, v0, s21
	s_cbranch_scc1 .LBB54_15
; %bb.16:                               ;   in Loop: Header=BB54_8 Depth=1
	scratch_load_dwordx4 v[8:11], off, off offset:256
	scratch_load_dwordx4 v[4:7], off, off offset:288
	scratch_load_dwordx4 v[32:35], off, off offset:320
	scratch_load_dwordx4 v[36:39], off, off offset:352
	scratch_load_dwordx4 v[16:19], off, off offset:384
	scratch_load_dwordx4 v[56:59], off, off offset:416
	scratch_load_dwordx4 v[52:55], off, off offset:448
	scratch_load_dwordx4 v[76:79], off, off offset:480
	scratch_load_dwordx4 v[92:95], off, off offset:272
	scratch_load_dwordx4 v[88:91], off, off offset:304
	scratch_load_dwordx4 v[100:103], off, off offset:336
	scratch_load_dwordx4 v[96:99], off, off offset:368
	scratch_load_dwordx4 v[108:111], off, off offset:400
	scratch_load_dwordx4 v[104:107], off, off offset:432
	scratch_load_dwordx4 v[80:83], off, off offset:464
	scratch_load_dwordx4 v[84:87], off, off offset:496
	v_or_b32_e32 v114, 0xd0, v120
	v_or_b32_e32 v112, 0x90, v120
	scratch_load_dwordx4 v[64:67], off, off offset:560
	scratch_load_dwordx4 v[68:71], off, off offset:544
	;; [unrolled: 1-line block ×12, first 2 shown]
	v_or_b32_e32 v113, 64, v120
	s_waitcnt vmcnt(27)
	;;#ASMSTART
	v_add_f32 v8, v9, v8 row_shl:1 bound_ctrl:0 
	;;#ASMEND
	s_waitcnt vmcnt(26)
	;;#ASMSTART
	v_add_f32 v4, v5, v4 row_shl:1 bound_ctrl:0 
	;;#ASMEND
	;; [unrolled: 4-line block ×4, first 2 shown]
	;;#ASMSTART
	v_add_f32 v8, v10, v8 row_shl:2 bound_ctrl:0 
	;;#ASMEND
	s_waitcnt vmcnt(22)
	;;#ASMSTART
	v_add_f32 v56, v57, v56 row_shl:1 bound_ctrl:0 
	;;#ASMEND
	;;#ASMSTART
	v_add_f32 v16, v17, v16 row_shl:1 bound_ctrl:0 
	;;#ASMEND
	;; [unrolled: 3-line block ×6, first 2 shown]
	s_waitcnt vmcnt(20)
	;;#ASMSTART
	v_add_f32 v76, v77, v76 row_shl:1 bound_ctrl:0 
	;;#ASMEND
	;;#ASMSTART
	v_add_f32 v56, v58, v56 row_shl:2 bound_ctrl:0 
	;;#ASMEND
	;; [unrolled: 3-line block ×5, first 2 shown]
	s_waitcnt vmcnt(19)
	;;#ASMSTART
	v_add_f32 v8, v92, v8 row_shl:8 bound_ctrl:0 
	;;#ASMEND
	;;#ASMSTART
	v_add_f32 v76, v78, v76 row_shl:2 bound_ctrl:0 
	;;#ASMEND
	;; [unrolled: 3-line block ×3, first 2 shown]
	s_waitcnt vmcnt(18)
	;;#ASMSTART
	v_add_f32 v4, v88, v4 row_shl:8 bound_ctrl:0 
	;;#ASMEND
	s_waitcnt vmcnt(17)
	;;#ASMSTART
	v_add_f32 v32, v100, v32 row_shl:8 bound_ctrl:0 
	;;#ASMEND
	;; [unrolled: 4-line block ×3, first 2 shown]
	;;#ASMSTART
	v_add_f32 v8, v93, v8 row_shl:9 bound_ctrl:0 
	;;#ASMEND
	;;#ASMSTART
	v_add_f32 v76, v79, v76 row_shl:3 bound_ctrl:0 
	;;#ASMEND
	s_waitcnt vmcnt(14)
	;;#ASMSTART
	v_add_f32 v56, v104, v56 row_shl:8 bound_ctrl:0 
	;;#ASMEND
	;;#ASMSTART
	v_add_f32 v4, v89, v4 row_shl:9 bound_ctrl:0 
	;;#ASMEND
	;; [unrolled: 3-line block ×5, first 2 shown]
	s_waitcnt vmcnt(12)
	;;#ASMSTART
	v_add_f32 v76, v84, v76 row_shl:8 bound_ctrl:0 
	;;#ASMEND
	;;#ASMSTART
	v_add_f32 v56, v105, v56 row_shl:9 bound_ctrl:0 
	;;#ASMEND
	;; [unrolled: 3-line block ×6, first 2 shown]
	ds_bpermute_b32 v5, v112, v8
	;;#ASMSTART
	v_add_f32 v4, v91, v4 row_shl:11 bound_ctrl:0 
	;;#ASMEND
	ds_bpermute_b32 v6, v114, v4
	;;#ASMSTART
	v_add_f32 v36, v99, v36 row_shl:11 bound_ctrl:0 
	;;#ASMEND
	;; [unrolled: 4-line block ×3, first 2 shown]
	ds_bpermute_b32 v7, v112, v32
	s_waitcnt lgkmcnt(2)
	v_add_f32_e32 v4, v4, v6
	ds_bpermute_b32 v4, v113, v4
	s_waitcnt lgkmcnt(2)
	v_add_f32_e32 v6, v36, v9
	ds_bpermute_b32 v6, v113, v6
	;;#ASMSTART
	v_add_f32 v76, v85, v76 row_shl:9 bound_ctrl:0 
	;;#ASMEND
	v_add_f32_e32 v5, v8, v5
	;;#ASMSTART
	v_add_f32 v56, v106, v56 row_shl:10 bound_ctrl:0 
	;;#ASMEND
	s_waitcnt lgkmcnt(2)
	v_add_f32_e32 v7, v32, v7
	s_waitcnt lgkmcnt(1)
	v_add_f32_e32 v4, v5, v4
	;;#ASMSTART
	v_add_f32 v76, v86, v76 row_shl:10 bound_ctrl:0 
	;;#ASMEND
	;;#ASMSTART
	v_add_f32 v56, v107, v56 row_shl:11 bound_ctrl:0 
	;;#ASMEND
	ds_bpermute_b32 v10, v114, v56
	s_waitcnt lgkmcnt(1)
	v_add_f32_e32 v5, v7, v6
	scratch_store_dword off, v4, off offset:256
	scratch_store_dword off, v5, off offset:320
	;;#ASMSTART
	v_add_f32 v76, v87, v76 row_shl:11 bound_ctrl:0 
	;;#ASMEND
	ds_bpermute_b32 v4, v114, v76
	s_waitcnt lgkmcnt(1)
	v_add_f32_e32 v8, v56, v10
	;;#ASMSTART
	v_add_f32 v52, v53, v52 row_shl:1 bound_ctrl:0 
	;;#ASMEND
	;;#ASMSTART
	v_add_f32 v16, v18, v16 row_shl:2 bound_ctrl:0 
	;;#ASMEND
	ds_bpermute_b32 v18, v113, v8
	s_waitcnt lgkmcnt(1)
	v_add_f32_e32 v4, v76, v4
	ds_bpermute_b32 v53, v113, v4
	scratch_load_dwordx4 v[4:7], off, off offset:720
	scratch_load_dwordx4 v[8:11], off, off offset:704
	scratch_load_dwordx4 v[36:39], off, off offset:752
	scratch_load_dwordx4 v[32:35], off, off offset:736
	;;#ASMSTART
	v_add_f32 v16, v19, v16 row_shl:3 bound_ctrl:0 
	;;#ASMEND
	;;#ASMSTART
	v_add_f32 v52, v54, v52 row_shl:2 bound_ctrl:0 
	;;#ASMEND
	s_waitcnt vmcnt(16)
	;;#ASMSTART
	v_add_f32 v68, v69, v68 row_shl:1 bound_ctrl:0 
	;;#ASMEND
	s_waitcnt vmcnt(12)
	;;#ASMSTART
	v_add_f32 v44, v45, v44 row_shl:1 bound_ctrl:0 
	;;#ASMEND
	;;#ASMSTART
	v_add_f32 v12, v13, v12 row_shl:1 bound_ctrl:0 
	;;#ASMEND
	s_waitcnt vmcnt(10)
	;;#ASMSTART
	v_add_f32 v40, v41, v40 row_shl:1 bound_ctrl:0 
	;;#ASMEND
	;;#ASMSTART
	v_add_f32 v16, v108, v16 row_shl:8 bound_ctrl:0 
	;;#ASMEND
	;;#ASMSTART
	v_add_f32 v52, v55, v52 row_shl:3 bound_ctrl:0 
	;;#ASMEND
	;;#ASMSTART
	v_add_f32 v68, v70, v68 row_shl:2 bound_ctrl:0 
	;;#ASMEND
	;;#ASMSTART
	v_add_f32 v44, v46, v44 row_shl:2 bound_ctrl:0 
	;;#ASMEND
	;;#ASMSTART
	v_add_f32 v12, v14, v12 row_shl:2 bound_ctrl:0 
	;;#ASMEND
	s_nop 0
	;;#ASMSTART
	v_add_f32 v40, v42, v40 row_shl:2 bound_ctrl:0 
	;;#ASMEND
	;;#ASMSTART
	v_add_f32 v16, v109, v16 row_shl:9 bound_ctrl:0 
	;;#ASMEND
	;;#ASMSTART
	v_add_f32 v52, v80, v52 row_shl:8 bound_ctrl:0 
	;;#ASMEND
	;;#ASMSTART
	v_add_f32 v68, v71, v68 row_shl:3 bound_ctrl:0 
	;;#ASMEND
	;;#ASMSTART
	v_add_f32 v44, v47, v44 row_shl:3 bound_ctrl:0 
	;;#ASMEND
	;;#ASMSTART
	v_add_f32 v12, v15, v12 row_shl:3 bound_ctrl:0 
	;;#ASMEND
	s_nop 0
	;; [unrolled: 19-line block ×3, first 2 shown]
	;;#ASMSTART
	v_add_f32 v40, v48, v40 row_shl:8 bound_ctrl:0 
	;;#ASMEND
	;;#ASMSTART
	v_add_f32 v16, v111, v16 row_shl:11 bound_ctrl:0 
	;;#ASMEND
	ds_bpermute_b32 v17, v112, v16
	;;#ASMSTART
	v_add_f32 v52, v82, v52 row_shl:10 bound_ctrl:0 
	;;#ASMEND
	;;#ASMSTART
	v_add_f32 v68, v65, v68 row_shl:9 bound_ctrl:0 
	;;#ASMEND
	;; [unrolled: 3-line block ×4, first 2 shown]
	s_waitcnt lgkmcnt(0)
	v_add_f32_e32 v16, v16, v17
	;;#ASMSTART
	v_add_f32 v52, v83, v52 row_shl:11 bound_ctrl:0 
	;;#ASMEND
	ds_bpermute_b32 v19, v112, v52
	v_add_f32_e32 v16, v16, v18
	;;#ASMSTART
	v_add_f32 v68, v66, v68 row_shl:10 bound_ctrl:0 
	;;#ASMEND
	scratch_store_dword off, v16, off offset:384
	;;#ASMSTART
	v_add_f32 v68, v67, v68 row_shl:11 bound_ctrl:0 
	;;#ASMEND
	s_waitcnt lgkmcnt(0)
	v_add_f32_e32 v16, v52, v19
	ds_bpermute_b32 v13, v114, v68
	v_add_f32_e32 v16, v16, v53
	scratch_store_dword off, v16, off offset:448
	;;#ASMSTART
	v_add_f32 v44, v62, v44 row_shl:10 bound_ctrl:0 
	;;#ASMEND
	scratch_load_dwordx4 v[52:55], off, off offset:784
	scratch_load_dwordx4 v[14:17], off, off offset:768
	;; [unrolled: 1-line block ×4, first 2 shown]
	;;#ASMSTART
	v_add_f32 v44, v63, v44 row_shl:11 bound_ctrl:0 
	;;#ASMEND
	ds_bpermute_b32 v19, v114, v44
	;;#ASMSTART
	v_add_f32 v12, v74, v12 row_shl:10 bound_ctrl:0 
	;;#ASMEND
	s_waitcnt lgkmcnt(1)
	v_add_f32_e32 v13, v68, v13
	;;#ASMSTART
	v_add_f32 v12, v75, v12 row_shl:11 bound_ctrl:0 
	;;#ASMEND
	;;#ASMSTART
	v_add_f32 v40, v49, v40 row_shl:9 bound_ctrl:0 
	;;#ASMEND
	scratch_load_dwordx4 v[46:49], off, off offset:848
	scratch_load_dwordx4 v[60:63], off, off offset:832
	;; [unrolled: 1-line block ×4, first 2 shown]
	ds_bpermute_b32 v18, v112, v12
	s_waitcnt vmcnt(18)
	;;#ASMSTART
	v_add_f32 v24, v25, v24 row_shl:1 bound_ctrl:0 
	;;#ASMEND
	ds_bpermute_b32 v13, v113, v13
	;;#ASMSTART
	v_add_f32 v40, v50, v40 row_shl:10 bound_ctrl:0 
	;;#ASMEND
	;;#ASMSTART
	v_add_f32 v24, v26, v24 row_shl:2 bound_ctrl:0 
	;;#ASMEND
	s_waitcnt lgkmcnt(2)
	v_add_f32_e32 v19, v44, v19
	;;#ASMSTART
	v_add_f32 v40, v51, v40 row_shl:11 bound_ctrl:0 
	;;#ASMEND
	ds_bpermute_b32 v41, v112, v40
	;;#ASMSTART
	v_add_f32 v24, v27, v24 row_shl:3 bound_ctrl:0 
	;;#ASMEND
	ds_bpermute_b32 v19, v113, v19
	;;#ASMSTART
	v_add_f32 v24, v20, v24 row_shl:8 bound_ctrl:0 
	;;#ASMEND
	s_waitcnt lgkmcnt(3)
	v_add_f32_e32 v12, v12, v18
	;;#ASMSTART
	v_add_f32 v24, v21, v24 row_shl:9 bound_ctrl:0 
	;;#ASMEND
	s_waitcnt lgkmcnt(2)
	v_add_f32_e32 v12, v12, v13
	;;#ASMSTART
	v_add_f32 v24, v22, v24 row_shl:10 bound_ctrl:0 
	;;#ASMEND
	s_waitcnt vmcnt(16)
	;;#ASMSTART
	v_add_f32 v0, v1, v0 row_shl:1 bound_ctrl:0 
	;;#ASMEND
	scratch_store_dword off, v12, off offset:512
	;;#ASMSTART
	v_add_f32 v24, v23, v24 row_shl:11 bound_ctrl:0 
	;;#ASMEND
	ds_bpermute_b32 v1, v114, v24
	s_waitcnt lgkmcnt(2)
	v_add_f32_e32 v12, v40, v41
	s_waitcnt lgkmcnt(1)
	v_add_f32_e32 v12, v12, v19
	;;#ASMSTART
	v_add_f32 v0, v2, v0 row_shl:2 bound_ctrl:0 
	;;#ASMEND
	scratch_store_dword off, v12, off offset:576
	;;#ASMSTART
	v_add_f32 v0, v3, v0 row_shl:3 bound_ctrl:0 
	;;#ASMEND
	s_waitcnt vmcnt(14)
	;;#ASMSTART
	v_add_f32 v8, v9, v8 row_shl:1 bound_ctrl:0 
	;;#ASMEND
	;;#ASMSTART
	v_add_f32 v0, v28, v0 row_shl:8 bound_ctrl:0 
	;;#ASMEND
	scratch_load_dwordx4 v[40:43], off, off offset:912
	scratch_load_dwordx4 v[18:21], off, off offset:896
	;; [unrolled: 1-line block ×4, first 2 shown]
	;;#ASMSTART
	v_add_f32 v8, v10, v8 row_shl:2 bound_ctrl:0 
	;;#ASMEND
	;;#ASMSTART
	v_add_f32 v0, v29, v0 row_shl:9 bound_ctrl:0 
	;;#ASMEND
	s_waitcnt lgkmcnt(0)
	v_add_f32_e32 v1, v24, v1
	;;#ASMSTART
	v_add_f32 v8, v11, v8 row_shl:3 bound_ctrl:0 
	;;#ASMEND
	scratch_load_dwordx4 v[10:13], off, off offset:976
	scratch_load_dwordx4 v[22:25], off, off offset:960
	scratch_load_dwordx4 v[84:87], off, off offset:1008
	scratch_load_dwordx4 v[26:29], off, off offset:992
	s_waitcnt vmcnt(20)
	;;#ASMSTART
	v_add_f32 v32, v33, v32 row_shl:1 bound_ctrl:0 
	;;#ASMEND
	;;#ASMSTART
	v_add_f32 v0, v30, v0 row_shl:10 bound_ctrl:0 
	;;#ASMEND
	;; [unrolled: 3-line block ×3, first 2 shown]
	ds_bpermute_b32 v1, v113, v1
	;;#ASMSTART
	v_add_f32 v32, v34, v32 row_shl:2 bound_ctrl:0 
	;;#ASMEND
	;;#ASMSTART
	v_add_f32 v0, v31, v0 row_shl:11 bound_ctrl:0 
	;;#ASMEND
	ds_bpermute_b32 v2, v112, v0
	;;#ASMSTART
	v_add_f32 v32, v35, v32 row_shl:3 bound_ctrl:0 
	;;#ASMEND
	;;#ASMSTART
	v_add_f32 v8, v5, v8 row_shl:9 bound_ctrl:0 
	;;#ASMEND
	s_waitcnt vmcnt(14)
	;;#ASMSTART
	v_add_f32 v56, v57, v56 row_shl:1 bound_ctrl:0 
	;;#ASMEND
	;;#ASMSTART
	v_add_f32 v32, v36, v32 row_shl:8 bound_ctrl:0 
	;;#ASMEND
	;; [unrolled: 3-line block ×3, first 2 shown]
	s_nop 0
	;;#ASMSTART
	v_add_f32 v56, v58, v56 row_shl:2 bound_ctrl:0 
	;;#ASMEND
	s_waitcnt lgkmcnt(0)
	v_add_f32_e32 v0, v0, v2
	;;#ASMSTART
	v_add_f32 v32, v37, v32 row_shl:9 bound_ctrl:0 
	;;#ASMEND
	;;#ASMSTART
	v_add_f32 v8, v7, v8 row_shl:11 bound_ctrl:0 
	;;#ASMEND
	ds_bpermute_b32 v4, v112, v8
	;;#ASMSTART
	v_add_f32 v32, v38, v32 row_shl:10 bound_ctrl:0 
	;;#ASMEND
	;;#ASMSTART
	v_add_f32 v56, v59, v56 row_shl:3 bound_ctrl:0 
	;;#ASMEND
	s_waitcnt vmcnt(10)
	;;#ASMSTART
	v_add_f32 v68, v69, v68 row_shl:1 bound_ctrl:0 
	;;#ASMEND
	v_add_f32_e32 v0, v0, v1
	;;#ASMSTART
	v_add_f32 v32, v39, v32 row_shl:11 bound_ctrl:0 
	;;#ASMEND
	ds_bpermute_b32 v3, v114, v32
	;;#ASMSTART
	v_add_f32 v56, v64, v56 row_shl:8 bound_ctrl:0 
	;;#ASMEND
	;;#ASMSTART
	v_add_f32 v68, v70, v68 row_shl:2 bound_ctrl:0 
	;;#ASMEND
	scratch_store_dword off, v0, off offset:640
	s_waitcnt lgkmcnt(1)
	v_add_f32_e32 v0, v8, v4
	s_waitcnt lgkmcnt(0)
	v_add_f32_e32 v3, v32, v3
	ds_bpermute_b32 v3, v113, v3
	;;#ASMSTART
	v_add_f32 v56, v65, v56 row_shl:9 bound_ctrl:0 
	;;#ASMEND
	;;#ASMSTART
	v_add_f32 v68, v71, v68 row_shl:3 bound_ctrl:0 
	;;#ASMEND
	;; [unrolled: 3-line block ×4, first 2 shown]
	s_waitcnt lgkmcnt(0)
	v_add_f32_e32 v0, v0, v3
	;;#ASMSTART
	v_add_f32 v56, v66, v56 row_shl:10 bound_ctrl:0 
	;;#ASMEND
	;;#ASMSTART
	v_add_f32 v68, v72, v68 row_shl:8 bound_ctrl:0 
	;;#ASMEND
	scratch_store_dword off, v0, off offset:704
	;;#ASMSTART
	v_add_f32 v14, v16, v14 row_shl:2 bound_ctrl:0 
	;;#ASMEND
	;;#ASMSTART
	v_add_f32 v56, v67, v56 row_shl:11 bound_ctrl:0 
	;;#ASMEND
	ds_bpermute_b32 v0, v114, v56
	;;#ASMSTART
	v_add_f32 v68, v73, v68 row_shl:9 bound_ctrl:0 
	;;#ASMEND
	;;#ASMSTART
	v_add_f32 v14, v17, v14 row_shl:3 bound_ctrl:0 
	;;#ASMEND
	;; [unrolled: 3-line block ×3, first 2 shown]
	s_waitcnt vmcnt(6)
	;;#ASMSTART
	v_add_f32 v76, v77, v76 row_shl:1 bound_ctrl:0 
	;;#ASMEND
	;;#ASMSTART
	v_add_f32 v68, v74, v68 row_shl:10 bound_ctrl:0 
	;;#ASMEND
	;; [unrolled: 3-line block ×4, first 2 shown]
	s_waitcnt lgkmcnt(0)
	v_add_f32_e32 v0, v56, v0
	;;#ASMSTART
	v_add_f32 v68, v75, v68 row_shl:11 bound_ctrl:0 
	;;#ASMEND
	ds_bpermute_b32 v2, v114, v68
	;;#ASMSTART
	v_add_f32 v14, v53, v14 row_shl:9 bound_ctrl:0 
	;;#ASMEND
	;;#ASMSTART
	v_add_f32 v60, v46, v60 row_shl:8 bound_ctrl:0 
	;;#ASMEND
	ds_bpermute_b32 v0, v113, v0
	;;#ASMSTART
	v_add_f32 v14, v54, v14 row_shl:10 bound_ctrl:0 
	;;#ASMEND
	;;#ASMSTART
	v_add_f32 v60, v47, v60 row_shl:9 bound_ctrl:0 
	;;#ASMEND
	s_waitcnt lgkmcnt(1)
	v_add_f32_e32 v2, v68, v2
	;;#ASMSTART
	v_add_f32 v14, v55, v14 row_shl:11 bound_ctrl:0 
	;;#ASMEND
	ds_bpermute_b32 v1, v112, v14
	;;#ASMSTART
	v_add_f32 v60, v48, v60 row_shl:10 bound_ctrl:0 
	;;#ASMEND
	ds_bpermute_b32 v2, v113, v2
	;; [unrolled: 4-line block ×3, first 2 shown]
	;;#ASMSTART
	v_add_f32 v76, v78, v76 row_shl:2 bound_ctrl:0 
	;;#ASMEND
	s_waitcnt vmcnt(2)
	;;#ASMSTART
	v_add_f32 v26, v27, v26 row_shl:1 bound_ctrl:0 
	;;#ASMEND
	s_waitcnt lgkmcnt(2)
	v_add_f32_e32 v1, v14, v1
	;;#ASMSTART
	v_add_f32 v76, v79, v76 row_shl:3 bound_ctrl:0 
	;;#ASMEND
	;;#ASMSTART
	v_add_f32 v26, v28, v26 row_shl:2 bound_ctrl:0 
	;;#ASMEND
	v_add_f32_e32 v0, v1, v0
	;;#ASMSTART
	v_add_f32 v76, v80, v76 row_shl:8 bound_ctrl:0 
	;;#ASMEND
	;;#ASMSTART
	v_add_f32 v26, v29, v26 row_shl:3 bound_ctrl:0 
	;;#ASMEND
	scratch_store_dword off, v0, off offset:768
	;;#ASMSTART
	v_add_f32 v76, v81, v76 row_shl:9 bound_ctrl:0 
	;;#ASMEND
	;;#ASMSTART
	v_add_f32 v26, v84, v26 row_shl:8 bound_ctrl:0 
	;;#ASMEND
	s_waitcnt lgkmcnt(0)
	v_add_f32_e32 v0, v60, v3
	;;#ASMSTART
	v_add_f32 v18, v19, v18 row_shl:1 bound_ctrl:0 
	;;#ASMEND
	;;#ASMSTART
	v_add_f32 v76, v82, v76 row_shl:10 bound_ctrl:0 
	;;#ASMEND
	;; [unrolled: 3-line block ×3, first 2 shown]
	v_add_f32_e32 v2, v0, v2
	;;#ASMSTART
	v_add_f32 v18, v20, v18 row_shl:2 bound_ctrl:0 
	;;#ASMEND
	;;#ASMSTART
	v_add_f32 v76, v83, v76 row_shl:11 bound_ctrl:0 
	;;#ASMEND
	ds_bpermute_b32 v0, v114, v76
	;;#ASMSTART
	v_add_f32 v22, v23, v22 row_shl:1 bound_ctrl:0 
	;;#ASMEND
	;;#ASMSTART
	v_add_f32 v26, v86, v26 row_shl:10 bound_ctrl:0 
	;;#ASMEND
	;; [unrolled: 3-line block ×3, first 2 shown]
	scratch_store_dword off, v2, off offset:832
	;;#ASMSTART
	v_add_f32 v22, v24, v22 row_shl:2 bound_ctrl:0 
	;;#ASMEND
	;;#ASMSTART
	v_add_f32 v26, v87, v26 row_shl:11 bound_ctrl:0 
	;;#ASMEND
	ds_bpermute_b32 v3, v114, v26
	;;#ASMSTART
	v_add_f32 v18, v40, v18 row_shl:8 bound_ctrl:0 
	;;#ASMEND
	;;#ASMSTART
	v_add_f32 v22, v25, v22 row_shl:3 bound_ctrl:0 
	;;#ASMEND
	s_waitcnt lgkmcnt(1)
	v_add_f32_e32 v0, v76, v0
	;;#ASMSTART
	v_add_f32 v18, v41, v18 row_shl:9 bound_ctrl:0 
	;;#ASMEND
	;;#ASMSTART
	v_add_f32 v22, v10, v22 row_shl:8 bound_ctrl:0 
	;;#ASMEND
	ds_bpermute_b32 v0, v113, v0
	;;#ASMSTART
	v_add_f32 v18, v42, v18 row_shl:10 bound_ctrl:0 
	;;#ASMEND
	;;#ASMSTART
	v_add_f32 v22, v11, v22 row_shl:9 bound_ctrl:0 
	;;#ASMEND
	s_waitcnt lgkmcnt(1)
	v_add_f32_e32 v3, v26, v3
	;;#ASMSTART
	v_add_f32 v18, v43, v18 row_shl:11 bound_ctrl:0 
	;;#ASMEND
	ds_bpermute_b32 v1, v112, v18
	;;#ASMSTART
	v_add_f32 v22, v12, v22 row_shl:10 bound_ctrl:0 
	;;#ASMEND
	ds_bpermute_b32 v3, v113, v3
	;; [unrolled: 4-line block ×3, first 2 shown]
	s_waitcnt lgkmcnt(2)
	v_add_f32_e32 v1, v18, v1
	v_add_f32_e32 v4, v1, v0
	scratch_store_dword off, v4, off offset:896
	s_waitcnt lgkmcnt(0)
	v_add_f32_e32 v0, v22, v5
	v_add_f32_e32 v3, v0, v3
	scratch_store_dword off, v3, off offset:960
	s_mov_b64 s[20:21], exec
	scratch_load_dwordx2 v[12:13], off, off offset:1920 ; 8-byte Folded Reload
	s_and_b64 s[22:23], s[20:21], s[0:1]
	v_mov_b32_e32 v104, v116
	v_mov_b32_e32 v108, v118
	;; [unrolled: 1-line block ×6, first 2 shown]
	s_mov_b64 exec, s[22:23]
	s_cbranch_execz .LBB54_7
; %bb.17:                               ;   in Loop: Header=BB54_8 Depth=1
	scratch_load_dwordx4 v[6:9], off, off
                                        ; implicit-def: $vgpr5
	s_waitcnt vmcnt(0)
	v_mul_f32_e32 v0, s7, v6
	v_mul_f32_e32 v0, s24, v0
	v_and_b32_e32 v1, 0x7f800000, v0
	v_cmp_ne_u32_e32 vcc, s26, v1
	s_and_saveexec_b64 s[22:23], vcc
	s_xor_b64 s[22:23], exec, s[22:23]
; %bb.18:                               ;   in Loop: Header=BB54_8 Depth=1
	v_bfe_u32 v1, v0, 16, 1
	v_add3_u32 v5, v0, v1, s27
                                        ; implicit-def: $vgpr0
; %bb.19:                               ;   in Loop: Header=BB54_8 Depth=1
	s_andn2_saveexec_b64 s[22:23], s[22:23]
; %bb.20:                               ;   in Loop: Header=BB54_8 Depth=1
	v_or_b32_e32 v1, 0x10000, v0
	v_cmp_eq_u32_sdwa vcc, v0, v107 src0_sel:WORD_0 src1_sel:DWORD
	s_nop 1
	v_cndmask_b32_e32 v5, v1, v0, vcc
; %bb.21:                               ;   in Loop: Header=BB54_8 Depth=1
	s_or_b64 exec, exec, s[22:23]
	scratch_load_dwordx4 v[6:9], off, off offset:64
	v_mov_b32_e32 v13, v107
	v_lshl_add_u64 v[0:1], v[12:13], 1, s[12:13]
	global_store_short_d16_hi v[0:1], v5, off
	s_waitcnt vmcnt(1)
	v_mul_f32_e32 v5, s7, v6
	v_mul_f32_e32 v5, s24, v5
	v_and_b32_e32 v6, 0x7f800000, v5
	v_cmp_ne_u32_e32 vcc, s26, v6
                                        ; implicit-def: $vgpr6
	s_and_saveexec_b64 s[22:23], vcc
	s_xor_b64 s[22:23], exec, s[22:23]
; %bb.22:                               ;   in Loop: Header=BB54_8 Depth=1
	v_bfe_u32 v6, v5, 16, 1
	v_add3_u32 v6, v5, v6, s27
                                        ; implicit-def: $vgpr5
; %bb.23:                               ;   in Loop: Header=BB54_8 Depth=1
	s_andn2_saveexec_b64 s[22:23], s[22:23]
; %bb.24:                               ;   in Loop: Header=BB54_8 Depth=1
	v_or_b32_e32 v6, 0x10000, v5
	v_cmp_eq_u32_sdwa vcc, v5, v107 src0_sel:WORD_0 src1_sel:DWORD
	s_nop 1
	v_cndmask_b32_e32 v6, v6, v5, vcc
; %bb.25:                               ;   in Loop: Header=BB54_8 Depth=1
	s_or_b64 exec, exec, s[22:23]
	scratch_load_dwordx4 v[8:11], off, off offset:128
	s_waitcnt vmcnt(0)
	v_mul_f32_e32 v5, s7, v8
	v_mul_f32_e32 v5, s24, v5
	global_store_short_d16_hi v[0:1], v6, off offset:2
	v_and_b32_e32 v6, 0x7f800000, v5
	v_cmp_ne_u32_e32 vcc, s26, v6
                                        ; implicit-def: $vgpr6
	s_and_saveexec_b64 s[22:23], vcc
	s_xor_b64 s[22:23], exec, s[22:23]
; %bb.26:                               ;   in Loop: Header=BB54_8 Depth=1
	v_bfe_u32 v6, v5, 16, 1
	v_add3_u32 v6, v5, v6, s27
                                        ; implicit-def: $vgpr5
; %bb.27:                               ;   in Loop: Header=BB54_8 Depth=1
	s_andn2_saveexec_b64 s[22:23], s[22:23]
; %bb.28:                               ;   in Loop: Header=BB54_8 Depth=1
	v_or_b32_e32 v6, 0x10000, v5
	v_cmp_eq_u32_sdwa vcc, v5, v107 src0_sel:WORD_0 src1_sel:DWORD
	s_nop 1
	v_cndmask_b32_e32 v6, v6, v5, vcc
; %bb.29:                               ;   in Loop: Header=BB54_8 Depth=1
	s_or_b64 exec, exec, s[22:23]
	scratch_load_dwordx4 v[8:11], off, off offset:192
	s_waitcnt vmcnt(0)
	v_mul_f32_e32 v5, s7, v8
	v_mul_f32_e32 v5, s24, v5
	global_store_short_d16_hi v[0:1], v6, off offset:4
	v_and_b32_e32 v6, 0x7f800000, v5
	v_cmp_ne_u32_e32 vcc, s26, v6
                                        ; implicit-def: $vgpr6
	s_and_saveexec_b64 s[22:23], vcc
	s_xor_b64 s[22:23], exec, s[22:23]
; %bb.30:                               ;   in Loop: Header=BB54_8 Depth=1
	v_bfe_u32 v6, v5, 16, 1
	v_add3_u32 v6, v5, v6, s27
                                        ; implicit-def: $vgpr5
; %bb.31:                               ;   in Loop: Header=BB54_8 Depth=1
	s_andn2_saveexec_b64 s[22:23], s[22:23]
; %bb.32:                               ;   in Loop: Header=BB54_8 Depth=1
	v_or_b32_e32 v6, 0x10000, v5
	v_cmp_eq_u32_sdwa vcc, v5, v107 src0_sel:WORD_0 src1_sel:DWORD
	s_nop 1
	v_cndmask_b32_e32 v6, v6, v5, vcc
; %bb.33:                               ;   in Loop: Header=BB54_8 Depth=1
	s_or_b64 exec, exec, s[22:23]
	scratch_load_dwordx4 v[8:11], off, off offset:256
	s_nop 0
	global_store_short_d16_hi v[0:1], v6, off offset:6
	s_waitcnt vmcnt(1)
	v_mul_f32_e32 v0, s7, v8
	v_mul_f32_e32 v1, s24, v0
	v_and_b32_e32 v0, 0x7f800000, v1
	v_cmp_ne_u32_e32 vcc, s26, v0
                                        ; implicit-def: $vgpr0
	s_and_saveexec_b64 s[22:23], vcc
	s_xor_b64 s[22:23], exec, s[22:23]
; %bb.34:                               ;   in Loop: Header=BB54_8 Depth=1
	v_bfe_u32 v0, v1, 16, 1
	v_add3_u32 v0, v1, v0, s27
                                        ; implicit-def: $vgpr1
; %bb.35:                               ;   in Loop: Header=BB54_8 Depth=1
	s_andn2_saveexec_b64 s[22:23], s[22:23]
; %bb.36:                               ;   in Loop: Header=BB54_8 Depth=1
	v_or_b32_e32 v0, 0x10000, v1
	v_cmp_eq_u32_sdwa vcc, v1, v107 src0_sel:WORD_0 src1_sel:DWORD
	s_nop 1
	v_cndmask_b32_e32 v0, v0, v1, vcc
; %bb.37:                               ;   in Loop: Header=BB54_8 Depth=1
	s_or_b64 exec, exec, s[22:23]
	scratch_load_dwordx4 v[6:9], off, off offset:320
	v_add_u32_e32 v106, s6, v12
	s_waitcnt vmcnt(0)
	v_lshl_add_u64 v[8:9], v[106:107], 1, s[12:13]
	global_store_short_d16_hi v[8:9], v0, off
	v_mul_f32_e32 v0, s7, v6
	v_mul_f32_e32 v1, s24, v0
	v_and_b32_e32 v0, 0x7f800000, v1
	v_cmp_ne_u32_e32 vcc, s26, v0
                                        ; implicit-def: $vgpr0
	s_and_saveexec_b64 s[22:23], vcc
	s_xor_b64 s[22:23], exec, s[22:23]
; %bb.38:                               ;   in Loop: Header=BB54_8 Depth=1
	v_bfe_u32 v0, v1, 16, 1
	v_add3_u32 v0, v1, v0, s27
                                        ; implicit-def: $vgpr1
; %bb.39:                               ;   in Loop: Header=BB54_8 Depth=1
	s_andn2_saveexec_b64 s[22:23], s[22:23]
; %bb.40:                               ;   in Loop: Header=BB54_8 Depth=1
	v_or_b32_e32 v0, 0x10000, v1
	v_cmp_eq_u32_sdwa vcc, v1, v107 src0_sel:WORD_0 src1_sel:DWORD
	s_nop 1
	v_cndmask_b32_e32 v0, v0, v1, vcc
; %bb.41:                               ;   in Loop: Header=BB54_8 Depth=1
	s_or_b64 exec, exec, s[22:23]
	scratch_load_dwordx4 v[6:9], off, off offset:384
	s_waitcnt vmcnt(0)
	v_add_u32_e32 v8, 1, v106
	v_mov_b32_e32 v9, v107
	v_lshl_add_u64 v[8:9], v[8:9], 1, s[12:13]
	global_store_short_d16_hi v[8:9], v0, off
	v_mul_f32_e32 v0, s7, v6
	v_mul_f32_e32 v1, s24, v0
	v_and_b32_e32 v0, 0x7f800000, v1
	v_cmp_ne_u32_e32 vcc, s26, v0
                                        ; implicit-def: $vgpr0
	s_and_saveexec_b64 s[22:23], vcc
	s_xor_b64 s[22:23], exec, s[22:23]
; %bb.42:                               ;   in Loop: Header=BB54_8 Depth=1
	v_bfe_u32 v0, v1, 16, 1
	v_add3_u32 v0, v1, v0, s27
                                        ; implicit-def: $vgpr1
; %bb.43:                               ;   in Loop: Header=BB54_8 Depth=1
	s_andn2_saveexec_b64 s[22:23], s[22:23]
; %bb.44:                               ;   in Loop: Header=BB54_8 Depth=1
	v_or_b32_e32 v0, 0x10000, v1
	v_cmp_eq_u32_sdwa vcc, v1, v107 src0_sel:WORD_0 src1_sel:DWORD
	s_nop 1
	v_cndmask_b32_e32 v0, v0, v1, vcc
; %bb.45:                               ;   in Loop: Header=BB54_8 Depth=1
	s_or_b64 exec, exec, s[22:23]
	scratch_load_dwordx4 v[6:9], off, off offset:448
	s_waitcnt vmcnt(0)
	v_add_u32_e32 v8, 2, v106
	v_mov_b32_e32 v9, v107
	;; [unrolled: 26-line block ×3, first 2 shown]
	v_lshl_add_u64 v[8:9], v[8:9], 1, s[12:13]
	global_store_short_d16_hi v[8:9], v0, off
                                        ; implicit-def: $vgpr5
	v_mul_f32_e32 v0, s7, v6
	v_mul_f32_e32 v0, s24, v0
	v_and_b32_e32 v1, 0x7f800000, v0
	v_cmp_ne_u32_e32 vcc, s26, v1
	s_and_saveexec_b64 s[22:23], vcc
	s_xor_b64 s[22:23], exec, s[22:23]
; %bb.50:                               ;   in Loop: Header=BB54_8 Depth=1
	v_bfe_u32 v1, v0, 16, 1
	v_add3_u32 v5, v0, v1, s27
                                        ; implicit-def: $vgpr0
; %bb.51:                               ;   in Loop: Header=BB54_8 Depth=1
	s_andn2_saveexec_b64 s[22:23], s[22:23]
; %bb.52:                               ;   in Loop: Header=BB54_8 Depth=1
	v_or_b32_e32 v1, 0x10000, v0
	v_cmp_eq_u32_sdwa vcc, v0, v107 src0_sel:WORD_0 src1_sel:DWORD
	s_nop 1
	v_cndmask_b32_e32 v5, v1, v0, vcc
; %bb.53:                               ;   in Loop: Header=BB54_8 Depth=1
	s_or_b64 exec, exec, s[22:23]
	scratch_load_dwordx4 v[6:9], off, off offset:576
	v_add_u32_e32 v106, s6, v106
	v_lshl_add_u64 v[0:1], v[106:107], 1, s[12:13]
	global_store_short_d16_hi v[0:1], v5, off
	s_waitcnt vmcnt(1)
	v_mul_f32_e32 v5, s7, v6
	v_mul_f32_e32 v5, s24, v5
	v_and_b32_e32 v6, 0x7f800000, v5
	v_cmp_ne_u32_e32 vcc, s26, v6
                                        ; implicit-def: $vgpr6
	s_and_saveexec_b64 s[22:23], vcc
	s_xor_b64 s[22:23], exec, s[22:23]
; %bb.54:                               ;   in Loop: Header=BB54_8 Depth=1
	v_bfe_u32 v6, v5, 16, 1
	v_add3_u32 v6, v5, v6, s27
                                        ; implicit-def: $vgpr5
; %bb.55:                               ;   in Loop: Header=BB54_8 Depth=1
	s_andn2_saveexec_b64 s[22:23], s[22:23]
; %bb.56:                               ;   in Loop: Header=BB54_8 Depth=1
	v_or_b32_e32 v6, 0x10000, v5
	v_cmp_eq_u32_sdwa vcc, v5, v107 src0_sel:WORD_0 src1_sel:DWORD
	s_nop 1
	v_cndmask_b32_e32 v6, v6, v5, vcc
; %bb.57:                               ;   in Loop: Header=BB54_8 Depth=1
	s_or_b64 exec, exec, s[22:23]
	scratch_load_dwordx4 v[8:11], off, off offset:640
	s_nop 0
	global_store_short_d16_hi v[0:1], v6, off offset:2
	s_waitcnt vmcnt(1)
	v_mul_f32_e32 v0, s7, v8
	v_mul_f32_e32 v1, s24, v0
	v_and_b32_e32 v0, 0x7f800000, v1
	v_cmp_ne_u32_e32 vcc, s26, v0
                                        ; implicit-def: $vgpr0
	s_and_saveexec_b64 s[22:23], vcc
	s_xor_b64 s[22:23], exec, s[22:23]
; %bb.58:                               ;   in Loop: Header=BB54_8 Depth=1
	v_bfe_u32 v0, v1, 16, 1
	v_add3_u32 v0, v1, v0, s27
                                        ; implicit-def: $vgpr1
; %bb.59:                               ;   in Loop: Header=BB54_8 Depth=1
	s_andn2_saveexec_b64 s[22:23], s[22:23]
; %bb.60:                               ;   in Loop: Header=BB54_8 Depth=1
	v_or_b32_e32 v0, 0x10000, v1
	v_cmp_eq_u32_sdwa vcc, v1, v107 src0_sel:WORD_0 src1_sel:DWORD
	s_nop 1
	v_cndmask_b32_e32 v0, v0, v1, vcc
; %bb.61:                               ;   in Loop: Header=BB54_8 Depth=1
	s_or_b64 exec, exec, s[22:23]
	scratch_load_dwordx4 v[6:9], off, off offset:704
	s_waitcnt vmcnt(0)
	v_add_u32_e32 v8, 2, v106
	v_mov_b32_e32 v9, v107
	v_lshl_add_u64 v[8:9], v[8:9], 1, s[12:13]
	global_store_short_d16_hi v[8:9], v0, off
	v_mul_f32_e32 v0, s7, v6
	v_mul_f32_e32 v1, s24, v0
	v_and_b32_e32 v0, 0x7f800000, v1
	v_cmp_ne_u32_e32 vcc, s26, v0
                                        ; implicit-def: $vgpr0
	s_and_saveexec_b64 s[22:23], vcc
	s_xor_b64 s[22:23], exec, s[22:23]
; %bb.62:                               ;   in Loop: Header=BB54_8 Depth=1
	v_bfe_u32 v0, v1, 16, 1
	v_add3_u32 v0, v1, v0, s27
                                        ; implicit-def: $vgpr1
; %bb.63:                               ;   in Loop: Header=BB54_8 Depth=1
	s_andn2_saveexec_b64 s[22:23], s[22:23]
; %bb.64:                               ;   in Loop: Header=BB54_8 Depth=1
	v_or_b32_e32 v0, 0x10000, v1
	v_cmp_eq_u32_sdwa vcc, v1, v107 src0_sel:WORD_0 src1_sel:DWORD
	s_nop 1
	v_cndmask_b32_e32 v0, v0, v1, vcc
; %bb.65:                               ;   in Loop: Header=BB54_8 Depth=1
	s_or_b64 exec, exec, s[22:23]
	scratch_load_dwordx4 v[6:9], off, off offset:768
	s_waitcnt vmcnt(0)
	v_add_u32_e32 v8, 3, v106
	v_mov_b32_e32 v9, v107
	v_lshl_add_u64 v[8:9], v[8:9], 1, s[12:13]
	global_store_short_d16_hi v[8:9], v0, off
	v_mul_f32_e32 v0, s7, v6
	v_mul_f32_e32 v1, s24, v0
	v_and_b32_e32 v0, 0x7f800000, v1
	v_cmp_ne_u32_e32 vcc, s26, v0
                                        ; implicit-def: $vgpr0
	s_and_saveexec_b64 s[22:23], vcc
	s_xor_b64 s[22:23], exec, s[22:23]
; %bb.66:                               ;   in Loop: Header=BB54_8 Depth=1
	v_bfe_u32 v0, v1, 16, 1
	v_add3_u32 v0, v1, v0, s27
                                        ; implicit-def: $vgpr1
; %bb.67:                               ;   in Loop: Header=BB54_8 Depth=1
	s_andn2_saveexec_b64 s[22:23], s[22:23]
; %bb.68:                               ;   in Loop: Header=BB54_8 Depth=1
	v_or_b32_e32 v0, 0x10000, v1
	v_cmp_eq_u32_sdwa vcc, v1, v107 src0_sel:WORD_0 src1_sel:DWORD
	s_nop 1
	v_cndmask_b32_e32 v0, v0, v1, vcc
; %bb.69:                               ;   in Loop: Header=BB54_8 Depth=1
	s_or_b64 exec, exec, s[22:23]
	v_add_u32_e32 v106, s6, v106
	v_lshl_add_u64 v[6:7], v[106:107], 1, s[12:13]
	global_store_short_d16_hi v[6:7], v0, off
	v_mul_f32_e32 v0, s7, v2
	v_mul_f32_e32 v1, s24, v0
	v_and_b32_e32 v0, 0x7f800000, v1
	v_cmp_ne_u32_e32 vcc, s26, v0
                                        ; implicit-def: $vgpr0
	s_and_saveexec_b64 s[22:23], vcc
	s_xor_b64 s[22:23], exec, s[22:23]
; %bb.70:                               ;   in Loop: Header=BB54_8 Depth=1
	v_bfe_u32 v0, v1, 16, 1
	v_add3_u32 v0, v1, v0, s27
                                        ; implicit-def: $vgpr1
; %bb.71:                               ;   in Loop: Header=BB54_8 Depth=1
	s_andn2_saveexec_b64 s[22:23], s[22:23]
; %bb.72:                               ;   in Loop: Header=BB54_8 Depth=1
	v_or_b32_e32 v0, 0x10000, v1
	v_cmp_eq_u32_sdwa vcc, v1, v107 src0_sel:WORD_0 src1_sel:DWORD
	s_nop 1
	v_cndmask_b32_e32 v0, v0, v1, vcc
; %bb.73:                               ;   in Loop: Header=BB54_8 Depth=1
	s_or_b64 exec, exec, s[22:23]
	v_add_u32_e32 v6, 1, v106
	v_mov_b32_e32 v7, v107
	v_lshl_add_u64 v[6:7], v[6:7], 1, s[12:13]
	global_store_short_d16_hi v[6:7], v0, off
	v_mul_f32_e32 v0, s7, v4
	v_mul_f32_e32 v1, s24, v0
	v_and_b32_e32 v0, 0x7f800000, v1
	v_cmp_ne_u32_e32 vcc, s26, v0
                                        ; implicit-def: $vgpr0
	s_and_saveexec_b64 s[22:23], vcc
	s_xor_b64 s[22:23], exec, s[22:23]
; %bb.74:                               ;   in Loop: Header=BB54_8 Depth=1
	v_bfe_u32 v0, v1, 16, 1
	v_add3_u32 v0, v1, v0, s27
                                        ; implicit-def: $vgpr1
; %bb.75:                               ;   in Loop: Header=BB54_8 Depth=1
	s_andn2_saveexec_b64 s[22:23], s[22:23]
; %bb.76:                               ;   in Loop: Header=BB54_8 Depth=1
	v_or_b32_e32 v0, 0x10000, v1
	v_cmp_eq_u32_sdwa vcc, v1, v107 src0_sel:WORD_0 src1_sel:DWORD
	s_nop 1
	v_cndmask_b32_e32 v0, v0, v1, vcc
; %bb.77:                               ;   in Loop: Header=BB54_8 Depth=1
	s_or_b64 exec, exec, s[22:23]
	v_add_u32_e32 v4, 2, v106
	v_mov_b32_e32 v5, v107
	v_lshl_add_u64 v[4:5], v[4:5], 1, s[12:13]
	global_store_short_d16_hi v[4:5], v0, off
	v_mul_f32_e32 v0, s7, v3
	v_mul_f32_e32 v1, s24, v0
	v_and_b32_e32 v0, 0x7f800000, v1
	v_cmp_ne_u32_e32 vcc, s26, v0
                                        ; implicit-def: $vgpr0
	s_and_saveexec_b64 s[22:23], vcc
	s_xor_b64 s[22:23], exec, s[22:23]
; %bb.78:                               ;   in Loop: Header=BB54_8 Depth=1
	v_bfe_u32 v0, v1, 16, 1
	v_add3_u32 v0, v1, v0, s27
                                        ; implicit-def: $vgpr1
; %bb.79:                               ;   in Loop: Header=BB54_8 Depth=1
	s_andn2_saveexec_b64 s[22:23], s[22:23]
	s_cbranch_execz .LBB54_6
; %bb.80:                               ;   in Loop: Header=BB54_8 Depth=1
	v_or_b32_e32 v0, 0x10000, v1
	v_cmp_eq_u32_sdwa vcc, v1, v107 src0_sel:WORD_0 src1_sel:DWORD
	s_nop 1
	v_cndmask_b32_e32 v0, v0, v1, vcc
	s_branch .LBB54_6
.LBB54_81:
	s_endpgm
	.section	.rodata,"a",@progbits
	.p2align	6, 0x0
	.amdhsa_kernel _Z17wvSplitKQ_hf_sml_I14__hip_bfloat16N3c1013Float8_e4m3fnELi64ELi4ELi16ELi16ELi1ELi4EEviiiPKT0_S5_PT_PKfS9_ii
		.amdhsa_group_segment_fixed_size 65536
		.amdhsa_private_segment_fixed_size 1984
		.amdhsa_kernarg_size 64
		.amdhsa_user_sgpr_count 2
		.amdhsa_user_sgpr_dispatch_ptr 0
		.amdhsa_user_sgpr_queue_ptr 0
		.amdhsa_user_sgpr_kernarg_segment_ptr 1
		.amdhsa_user_sgpr_dispatch_id 0
		.amdhsa_user_sgpr_kernarg_preload_length 0
		.amdhsa_user_sgpr_kernarg_preload_offset 0
		.amdhsa_user_sgpr_private_segment_size 0
		.amdhsa_uses_dynamic_stack 0
		.amdhsa_enable_private_segment 1
		.amdhsa_system_sgpr_workgroup_id_x 1
		.amdhsa_system_sgpr_workgroup_id_y 0
		.amdhsa_system_sgpr_workgroup_id_z 0
		.amdhsa_system_sgpr_workgroup_info 0
		.amdhsa_system_vgpr_workitem_id 1
		.amdhsa_next_free_vgpr 128
		.amdhsa_next_free_sgpr 28
		.amdhsa_accum_offset 128
		.amdhsa_reserve_vcc 1
		.amdhsa_float_round_mode_32 0
		.amdhsa_float_round_mode_16_64 0
		.amdhsa_float_denorm_mode_32 3
		.amdhsa_float_denorm_mode_16_64 3
		.amdhsa_dx10_clamp 1
		.amdhsa_ieee_mode 1
		.amdhsa_fp16_overflow 0
		.amdhsa_tg_split 0
		.amdhsa_exception_fp_ieee_invalid_op 0
		.amdhsa_exception_fp_denorm_src 0
		.amdhsa_exception_fp_ieee_div_zero 0
		.amdhsa_exception_fp_ieee_overflow 0
		.amdhsa_exception_fp_ieee_underflow 0
		.amdhsa_exception_fp_ieee_inexact 0
		.amdhsa_exception_int_div_zero 0
	.end_amdhsa_kernel
	.section	.text._Z17wvSplitKQ_hf_sml_I14__hip_bfloat16N3c1013Float8_e4m3fnELi64ELi4ELi16ELi16ELi1ELi4EEviiiPKT0_S5_PT_PKfS9_ii,"axG",@progbits,_Z17wvSplitKQ_hf_sml_I14__hip_bfloat16N3c1013Float8_e4m3fnELi64ELi4ELi16ELi16ELi1ELi4EEviiiPKT0_S5_PT_PKfS9_ii,comdat
.Lfunc_end54:
	.size	_Z17wvSplitKQ_hf_sml_I14__hip_bfloat16N3c1013Float8_e4m3fnELi64ELi4ELi16ELi16ELi1ELi4EEviiiPKT0_S5_PT_PKfS9_ii, .Lfunc_end54-_Z17wvSplitKQ_hf_sml_I14__hip_bfloat16N3c1013Float8_e4m3fnELi64ELi4ELi16ELi16ELi1ELi4EEviiiPKT0_S5_PT_PKfS9_ii
                                        ; -- End function
	.section	.AMDGPU.csdata,"",@progbits
; Kernel info:
; codeLenInByte = 8944
; NumSgprs: 34
; NumVgprs: 128
; NumAgprs: 0
; TotalNumVgprs: 128
; ScratchSize: 1984
; MemoryBound: 0
; FloatMode: 240
; IeeeMode: 1
; LDSByteSize: 65536 bytes/workgroup (compile time only)
; SGPRBlocks: 4
; VGPRBlocks: 15
; NumSGPRsForWavesPerEU: 34
; NumVGPRsForWavesPerEU: 128
; AccumOffset: 128
; Occupancy: 4
; WaveLimiterHint : 1
; COMPUTE_PGM_RSRC2:SCRATCH_EN: 1
; COMPUTE_PGM_RSRC2:USER_SGPR: 2
; COMPUTE_PGM_RSRC2:TRAP_HANDLER: 0
; COMPUTE_PGM_RSRC2:TGID_X_EN: 1
; COMPUTE_PGM_RSRC2:TGID_Y_EN: 0
; COMPUTE_PGM_RSRC2:TGID_Z_EN: 0
; COMPUTE_PGM_RSRC2:TIDIG_COMP_CNT: 1
; COMPUTE_PGM_RSRC3_GFX90A:ACCUM_OFFSET: 31
; COMPUTE_PGM_RSRC3_GFX90A:TG_SPLIT: 0
	.section	.text._Z13wvSplitKQ_hf_I14__hip_bfloat16N3c1013Float8_e4m3fnELi64ELi7ELi16ELi16ELi1ELi4EEviiiPKT0_S5_PT_PKfS9_ii,"axG",@progbits,_Z13wvSplitKQ_hf_I14__hip_bfloat16N3c1013Float8_e4m3fnELi64ELi7ELi16ELi16ELi1ELi4EEviiiPKT0_S5_PT_PKfS9_ii,comdat
	.protected	_Z13wvSplitKQ_hf_I14__hip_bfloat16N3c1013Float8_e4m3fnELi64ELi7ELi16ELi16ELi1ELi4EEviiiPKT0_S5_PT_PKfS9_ii ; -- Begin function _Z13wvSplitKQ_hf_I14__hip_bfloat16N3c1013Float8_e4m3fnELi64ELi7ELi16ELi16ELi1ELi4EEviiiPKT0_S5_PT_PKfS9_ii
	.globl	_Z13wvSplitKQ_hf_I14__hip_bfloat16N3c1013Float8_e4m3fnELi64ELi7ELi16ELi16ELi1ELi4EEviiiPKT0_S5_PT_PKfS9_ii
	.p2align	8
	.type	_Z13wvSplitKQ_hf_I14__hip_bfloat16N3c1013Float8_e4m3fnELi64ELi7ELi16ELi16ELi1ELi4EEviiiPKT0_S5_PT_PKfS9_ii,@function
_Z13wvSplitKQ_hf_I14__hip_bfloat16N3c1013Float8_e4m3fnELi64ELi7ELi16ELi16ELi1ELi4EEviiiPKT0_S5_PT_PKfS9_ii: ; @_Z13wvSplitKQ_hf_I14__hip_bfloat16N3c1013Float8_e4m3fnELi64ELi7ELi16ELi16ELi1ELi4EEviiiPKT0_S5_PT_PKfS9_ii
; %bb.0:
	s_load_dwordx4 s[20:23], s[0:1], 0x0
	s_load_dwordx2 s[24:25], s[0:1], 0x18
	s_load_dwordx4 s[4:7], s[0:1], 0x28
	v_bfe_u32 v1, v0, 10, 10
	v_and_b32_e32 v0, 0x3ff, v0
	v_lshlrev_b32_e32 v4, 4, v0
	v_mov_b32_e32 v2, v4
	s_waitcnt lgkmcnt(0)
	s_lshl_b32 s3, s20, 2
	scratch_store_dwordx2 off, v[2:3], off offset:3704 ; 8-byte Folded Spill
	v_lshl_add_u32 v2, v1, 10, v4
	s_min_i32 s3, s3, 0x10000
	v_cmp_gt_u32_e32 vcc, s3, v2
	s_and_saveexec_b64 s[8:9], vcc
	s_cbranch_execz .LBB55_3
; %bb.1:
	s_mov_b64 s[10:11], 0
.LBB55_2:                               ; =>This Inner Loop Header: Depth=1
	global_load_dwordx4 v[4:7], v2, s[24:25]
	s_waitcnt vmcnt(0)
	ds_write_b128 v2, v[4:7]
	v_add_u32_e32 v2, 0x4000, v2
	v_cmp_le_u32_e32 vcc, s3, v2
	s_or_b64 s[10:11], vcc, s[10:11]
	s_andn2_b64 exec, exec, s[10:11]
	s_cbranch_execnz .LBB55_2
.LBB55_3:
	s_or_b64 exec, exec, s[8:9]
	s_load_dwordx2 s[8:9], s[0:1], 0x38
	s_waitcnt lgkmcnt(0)
	s_barrier
	v_cmp_gt_u32_e32 vcc, s8, v1
	s_and_saveexec_b64 s[10:11], vcc
	s_cbranch_execz .LBB55_179
; %bb.4:
	s_mul_i32 s2, s2, s8
	v_add_u32_e32 v1, s2, v1
	v_mul_lo_u32 v8, v1, 7
	v_cmp_gt_u32_e32 vcc, s22, v8
	s_and_b64 exec, exec, vcc
	s_cbranch_execz .LBB55_179
; %bb.5:
	s_load_dword s23, s[4:5], 0x0
	s_load_dword s33, s[6:7], 0x0
	s_load_dwordx2 s[26:27], s[0:1], 0x10
	s_load_dwordx2 s[28:29], s[0:1], 0x20
	scratch_load_dwordx2 v[2:3], off, off offset:3704 ; 8-byte Folded Reload
	s_mov_b32 s4, 0
	v_cmp_eq_u32_e64 s[0:1], 0, v0
	v_mul_lo_u32 v0, s21, v1
	s_mov_b32 s5, s4
	s_mov_b32 s6, s4
	;; [unrolled: 1-line block ×3, first 2 shown]
	s_mul_i32 s38, s8, s9
	s_cmp_lg_u32 s20, 0
	s_mul_i32 s38, s38, 7
	s_cselect_b64 s[30:31], -1, 0
	s_lshl_b32 s39, s22, 1
	s_mul_i32 s40, s22, 3
	s_mul_i32 s41, s38, s21
	s_ashr_i32 s35, s21, 31
	s_mov_b32 s34, s21
	s_mov_b64 s[36:37], 0
	s_mov_b32 s21, 0xffff
	s_mov_b32 s42, 0x7f800000
	s_movk_i32 s43, 0x7fff
	s_waitcnt vmcnt(0)
	v_mad_u64_u32 v[0:1], s[2:3], v0, 7, v[2:3]
	scratch_store_dwordx2 off, v[0:1], off offset:3848 ; 8-byte Folded Spill
	v_mov_b64_e32 v[0:1], s[4:5]
	v_mov_b64_e32 v[2:3], s[6:7]
	scratch_store_dwordx4 off, v[0:3], off offset:3856 ; 16-byte Folded Spill
	s_nop 1
	v_mov_b32_e32 v1, 0
	scratch_store_dwordx2 off, v[0:1], off offset:1904 ; 8-byte Folded Spill
	v_mbcnt_lo_u32_b32 v0, -1, 0
	v_mbcnt_hi_u32_b32 v0, -1, v0
	v_lshlrev_b32_e32 v0, 2, v0
	v_and_b32_e32 v20, 0x100, v0
	scratch_store_dword off, v20, off offset:3872 ; 4-byte Folded Spill
	s_branch .LBB55_8
.LBB55_6:                               ;   in Loop: Header=BB55_8 Depth=1
	s_or_b64 exec, exec, s[2:3]
	scratch_load_dwordx2 v[2:3], off, off offset:1904 ; 8-byte Folded Reload
	v_add_u32_e32 v4, s40, v0
	s_waitcnt vmcnt(0)
	v_mov_b32_e32 v5, v3
	scratch_store_dwordx2 off, v[2:3], off offset:1904 ; 8-byte Folded Spill
	v_lshl_add_u64 v[2:3], v[4:5], 1, s[28:29]
	global_store_short_d16_hi v[2:3], v1, off
.LBB55_7:                               ;   in Loop: Header=BB55_8 Depth=1
	s_or_b64 exec, exec, s[6:7]
	scratch_load_dwordx2 v[0:1], off, off offset:3848 ; 8-byte Folded Reload
	s_waitcnt vmcnt(1)
	v_add_u32_e32 v8, s38, v8
	v_cmp_le_u32_e32 vcc, s22, v8
	s_or_b64 s[36:37], vcc, s[36:37]
	s_waitcnt vmcnt(0)
	v_add_u32_e32 v0, s41, v0
	scratch_store_dwordx2 off, v[0:1], off offset:3848 ; 8-byte Folded Spill
	s_andn2_b64 exec, exec, s[36:37]
	s_cbranch_execz .LBB55_179
.LBB55_8:                               ; =>This Loop Header: Depth=1
                                        ;     Child Loop BB55_12 Depth 2
                                        ;       Child Loop BB55_14 Depth 3
                                        ;     Child Loop BB55_32 Depth 2
                                        ;     Child Loop BB55_34 Depth 2
                                        ;     Child Loop BB55_36 Depth 2
                                        ;     Child Loop BB55_38 Depth 2
	scratch_load_dwordx4 v[0:3], off, off offset:3856 ; 16-byte Folded Reload
	s_and_b64 vcc, exec, s[30:31]
	scratch_store_dwordx2 off, v[8:9], off offset:3840 ; 8-byte Folded Spill
	s_waitcnt vmcnt(1)
	scratch_store_dwordx4 off, v[0:3], off offset:48
	scratch_store_dwordx4 off, v[0:3], off offset:32
	;; [unrolled: 1-line block ×3, first 2 shown]
	scratch_store_dwordx4 off, v[0:3], off
	scratch_store_dwordx4 off, v[0:3], off offset:496
	scratch_store_dwordx4 off, v[0:3], off offset:480
	;; [unrolled: 1-line block ×108, first 2 shown]
	s_cbranch_vccz .LBB55_31
; %bb.9:                                ;   in Loop: Header=BB55_8 Depth=1
	scratch_load_dwordx2 v[16:17], off, off offset:3848 ; 8-byte Folded Reload
	scratch_load_dwordx2 v[18:19], off, off offset:1904 ; 8-byte Folded Reload
	s_mov_b32 s5, s4
	s_mov_b32 s6, s4
	;; [unrolled: 1-line block ×15, first 2 shown]
	v_mov_b64_e32 v[0:1], s[4:5]
	v_mov_b64_e32 v[14:15], s[18:19]
	;; [unrolled: 1-line block ×9, first 2 shown]
	s_mov_b32 s44, 0
	v_mov_b64_e32 v[124:125], v[12:13]
	v_mov_b64_e32 v[122:123], v[10:11]
	;; [unrolled: 1-line block ×7, first 2 shown]
	s_waitcnt vmcnt(0)
	v_mov_b32_e32 v18, v16
	scratch_store_dwordx2 off, v[18:19], off offset:1904 ; 8-byte Folded Spill
	scratch_store_dwordx4 off, v[0:3], off offset:3320 ; 16-byte Folded Spill
	s_nop 0
	scratch_store_dwordx4 off, v[4:7], off offset:3336 ; 16-byte Folded Spill
	scratch_store_dwordx4 off, v[8:11], off offset:3352 ; 16-byte Folded Spill
	scratch_store_dwordx4 off, v[12:15], off offset:3368 ; 16-byte Folded Spill
	scratch_store_dwordx4 off, v[0:3], off offset:3384 ; 16-byte Folded Spill
	s_nop 0
	scratch_store_dwordx4 off, v[4:7], off offset:3400 ; 16-byte Folded Spill
	scratch_store_dwordx4 off, v[8:11], off offset:3416 ; 16-byte Folded Spill
	scratch_store_dwordx4 off, v[12:15], off offset:3432 ; 16-byte Folded Spill
	;; [unrolled: 5-line block ×27, first 2 shown]
	s_branch .LBB55_12
.LBB55_10:                              ;   in Loop: Header=BB55_12 Depth=2
	s_or_b64 exec, exec, s[6:7]
	scratch_load_dwordx4 v[120:123], off, off offset:1792
	scratch_load_dwordx4 v[16:19], off, off offset:1808
	s_waitcnt vmcnt(0)
	scratch_store_dwordx4 off, v[16:19], off offset:3824 ; 16-byte Folded Spill
	scratch_load_dwordx4 v[0:3], off, off offset:2744 ; 16-byte Folded Reload
	scratch_load_dwordx4 v[4:7], off, off offset:2760 ; 16-byte Folded Reload
	;; [unrolled: 1-line block ×8, first 2 shown]
	s_waitcnt vmcnt(0) lgkmcnt(0)
	v_mfma_f32_32x32x16_fp8_fp8 v[52:67], v[48:49], v[16:17], v[52:67]
	s_nop 7
	s_nop 2
	v_mov_b64_e32 v[70:71], v[66:67]
	v_mov_b64_e32 v[68:69], v[64:65]
	;; [unrolled: 1-line block ×8, first 2 shown]
	scratch_load_dwordx4 v[52:55], off, off offset:1824
	scratch_load_dwordx4 v[20:23], off, off offset:1840
	v_mfma_f32_32x32x16_fp8_fp8 v[0:15], v[48:49], v[120:121], v[0:15]
	s_waitcnt vmcnt(0)
	scratch_store_dwordx4 off, v[20:23], off offset:3808 ; 16-byte Folded Spill
	scratch_load_dwordx4 v[72:75], off, off offset:2616 ; 16-byte Folded Reload
	scratch_load_dwordx4 v[76:79], off, off offset:2632 ; 16-byte Folded Reload
	;; [unrolled: 1-line block ×8, first 2 shown]
	scratch_load_dwordx4 v[16:19], off, off offset:1856
	scratch_load_dwordx4 v[32:35], off, off offset:1872
	v_mfma_f32_32x32x16_fp8_fp8 v[0:15], v[50:51], v[122:123], v[0:15]
	s_waitcnt vmcnt(1)
	scratch_store_dwordx4 off, v[16:19], off offset:3792 ; 16-byte Folded Spill
	s_waitcnt vmcnt(1)
	scratch_store_dwordx4 off, v[32:35], off offset:3304 ; 16-byte Folded Spill
	scratch_load_dwordx4 v[104:107], off, off offset:2488 ; 16-byte Folded Reload
	scratch_load_dwordx4 v[108:111], off, off offset:2504 ; 16-byte Folded Reload
	;; [unrolled: 1-line block ×4, first 2 shown]
	v_mfma_f32_32x32x16_fp8_fp8 v[88:103], v[48:49], v[20:21], v[88:103]
	v_mfma_f32_32x32x16_fp8_fp8 v[72:87], v[48:49], v[52:53], v[72:87]
	;; [unrolled: 1-line block ×3, first 2 shown]
	s_waitcnt vmcnt(0)
	v_mfma_f32_32x32x16_fp8_fp8 v[104:119], v[48:49], v[16:17], v[104:119]
	scratch_load_dwordx4 v[16:19], off, off offset:2424 ; 16-byte Folded Reload
	scratch_load_dwordx4 v[20:23], off, off offset:2440 ; 16-byte Folded Reload
	;; [unrolled: 1-line block ×4, first 2 shown]
	s_waitcnt vmcnt(0)
	v_mfma_f32_32x32x16_fp8_fp8 v[16:31], v[48:49], v[32:33], v[16:31]
	scratch_load_dwordx4 v[124:127], off, off offset:1888
	scratch_load_dwordx4 v[32:35], off, off offset:1976 ; 16-byte Folded Reload
	scratch_load_dwordx4 v[36:39], off, off offset:1992 ; 16-byte Folded Reload
	;; [unrolled: 1-line block ×4, first 2 shown]
	s_waitcnt vmcnt(0)
	v_mfma_f32_32x32x16_fp8_fp8 v[32:47], v[48:49], v[124:125], v[32:47]
	s_nop 7
	s_nop 2
	scratch_store_dwordx4 off, v[32:35], off offset:1976 ; 16-byte Folded Spill
	s_nop 0
	scratch_store_dwordx4 off, v[36:39], off offset:1992 ; 16-byte Folded Spill
	scratch_store_dwordx4 off, v[40:43], off offset:2008 ; 16-byte Folded Spill
	;; [unrolled: 1-line block ×4, first 2 shown]
	s_nop 0
	scratch_store_dwordx4 off, v[4:7], off offset:2760 ; 16-byte Folded Spill
	scratch_store_dwordx4 off, v[8:11], off offset:2776 ; 16-byte Folded Spill
	;; [unrolled: 1-line block ×3, first 2 shown]
	scratch_load_dwordx4 v[40:43], off, off offset:3824 ; 16-byte Folded Reload
	s_waitcnt vmcnt(0)
	v_mfma_f32_32x32x16_fp8_fp8 v[56:71], v[50:51], v[42:43], v[56:71]
	s_nop 7
	s_nop 2
	scratch_store_dwordx4 off, v[56:59], off offset:2680 ; 16-byte Folded Spill
	s_nop 0
	scratch_store_dwordx4 off, v[60:63], off offset:2696 ; 16-byte Folded Spill
	scratch_store_dwordx4 off, v[64:67], off offset:2712 ; 16-byte Folded Spill
	;; [unrolled: 1-line block ×4, first 2 shown]
	s_nop 0
	scratch_store_dwordx4 off, v[76:79], off offset:2632 ; 16-byte Folded Spill
	scratch_store_dwordx4 off, v[80:83], off offset:2648 ; 16-byte Folded Spill
	;; [unrolled: 1-line block ×3, first 2 shown]
	scratch_load_dwordx4 v[60:63], off, off offset:3808 ; 16-byte Folded Reload
	v_mov_b64_e32 v[32:33], v[40:41]
	v_mov_b64_e32 v[34:35], v[42:43]
	s_waitcnt vmcnt(0)
	v_mfma_f32_32x32x16_fp8_fp8 v[88:103], v[50:51], v[62:63], v[88:103]
	s_nop 7
	s_nop 2
	scratch_store_dwordx4 off, v[88:91], off offset:2552 ; 16-byte Folded Spill
	s_nop 0
	scratch_store_dwordx4 off, v[92:95], off offset:2568 ; 16-byte Folded Spill
	scratch_store_dwordx4 off, v[96:99], off offset:2584 ; 16-byte Folded Spill
	;; [unrolled: 1-line block ×3, first 2 shown]
	scratch_load_dwordx4 v[36:39], off, off offset:3792 ; 16-byte Folded Reload
	v_mov_b64_e32 v[40:41], v[60:61]
	v_mov_b64_e32 v[42:43], v[62:63]
	s_waitcnt vmcnt(0)
	v_mfma_f32_32x32x16_fp8_fp8 v[104:119], v[50:51], v[38:39], v[104:119]
	s_nop 7
	s_nop 2
	scratch_store_dwordx4 off, v[104:107], off offset:2488 ; 16-byte Folded Spill
	s_nop 0
	scratch_store_dwordx4 off, v[108:111], off offset:2504 ; 16-byte Folded Spill
	scratch_store_dwordx4 off, v[112:115], off offset:2520 ; 16-byte Folded Spill
	;; [unrolled: 1-line block ×3, first 2 shown]
	scratch_load_dwordx4 v[44:47], off, off offset:3304 ; 16-byte Folded Reload
	s_waitcnt vmcnt(0)
	v_mfma_f32_32x32x16_fp8_fp8 v[16:31], v[50:51], v[46:47], v[16:31]
	s_nop 7
	s_nop 2
	scratch_store_dwordx4 off, v[16:19], off offset:2424 ; 16-byte Folded Spill
	s_nop 0
	scratch_store_dwordx4 off, v[20:23], off offset:2440 ; 16-byte Folded Spill
	scratch_store_dwordx4 off, v[24:27], off offset:2456 ; 16-byte Folded Spill
	;; [unrolled: 1-line block ×3, first 2 shown]
	scratch_load_dwordx4 v[0:3], off, off offset:1976 ; 16-byte Folded Reload
	scratch_load_dwordx4 v[4:7], off, off offset:1992 ; 16-byte Folded Reload
	;; [unrolled: 1-line block ×4, first 2 shown]
	s_waitcnt vmcnt(0)
	v_mfma_f32_32x32x16_fp8_fp8 v[0:15], v[50:51], v[126:127], v[0:15]
	s_nop 7
	s_nop 2
	scratch_store_dwordx4 off, v[0:3], off offset:1976 ; 16-byte Folded Spill
	s_nop 0
	scratch_store_dwordx4 off, v[4:7], off offset:1992 ; 16-byte Folded Spill
	scratch_store_dwordx4 off, v[8:11], off offset:2008 ; 16-byte Folded Spill
	;; [unrolled: 1-line block ×3, first 2 shown]
	v_mov_b64_e32 v[48:49], v[120:121]
	scratch_load_dwordx4 v[16:19], off, off offset:3192 ; 16-byte Folded Reload
	scratch_load_dwordx4 v[20:23], off, off offset:3208 ; 16-byte Folded Reload
	;; [unrolled: 1-line block ×4, first 2 shown]
	v_mov_b64_e32 v[50:51], v[122:123]
	scratch_load_dwordx4 v[120:123], off, off offset:3288 ; 16-byte Folded Reload
	s_waitcnt vmcnt(0)
	v_mfma_f32_32x32x16_fp8_fp8 v[16:31], v[120:121], v[48:49], v[16:31]
	scratch_store_dwordx4 off, v[48:51], off offset:3776 ; 16-byte Folded Spill
	scratch_load_dwordx4 v[0:3], off, off offset:3128 ; 16-byte Folded Reload
	scratch_load_dwordx4 v[4:7], off, off offset:3144 ; 16-byte Folded Reload
	scratch_load_dwordx4 v[8:11], off, off offset:3160 ; 16-byte Folded Reload
	scratch_load_dwordx4 v[12:15], off, off offset:3176 ; 16-byte Folded Reload
	s_waitcnt vmcnt(0)
	v_mfma_f32_32x32x16_fp8_fp8 v[0:15], v[120:121], v[32:33], v[0:15]
	s_nop 7
	s_nop 2
	v_mov_b64_e32 v[118:119], v[14:15]
	v_mov_b64_e32 v[116:117], v[12:13]
	v_mov_b64_e32 v[114:115], v[10:11]
	v_mov_b64_e32 v[112:113], v[8:9]
	v_mov_b64_e32 v[110:111], v[6:7]
	v_mov_b64_e32 v[108:109], v[4:5]
	v_mov_b64_e32 v[106:107], v[2:3]
	v_mov_b64_e32 v[104:105], v[0:1]
	scratch_load_dwordx4 v[0:3], off, off offset:3064 ; 16-byte Folded Reload
	scratch_load_dwordx4 v[4:7], off, off offset:3080 ; 16-byte Folded Reload
	scratch_load_dwordx4 v[8:11], off, off offset:3096 ; 16-byte Folded Reload
	scratch_load_dwordx4 v[12:15], off, off offset:3112 ; 16-byte Folded Reload
	s_waitcnt vmcnt(0)
	v_mfma_f32_32x32x16_fp8_fp8 v[0:15], v[120:121], v[52:53], v[0:15]
	s_nop 7
	s_nop 2
	v_mov_b64_e32 v[102:103], v[14:15]
	v_mov_b64_e32 v[100:101], v[12:13]
	v_mov_b64_e32 v[98:99], v[10:11]
	v_mov_b64_e32 v[96:97], v[8:9]
	v_mov_b64_e32 v[94:95], v[6:7]
	v_mov_b64_e32 v[92:93], v[4:5]
	v_mov_b64_e32 v[90:91], v[2:3]
	v_mov_b64_e32 v[88:89], v[0:1]
	;; [unrolled: 16-line block ×4, first 2 shown]
	scratch_load_dwordx4 v[0:3], off, off offset:2040 ; 16-byte Folded Reload
	scratch_load_dwordx4 v[4:7], off, off offset:2056 ; 16-byte Folded Reload
	scratch_load_dwordx4 v[8:11], off, off offset:2072 ; 16-byte Folded Reload
	scratch_load_dwordx4 v[12:15], off, off offset:2088 ; 16-byte Folded Reload
	s_waitcnt vmcnt(0)
	v_mfma_f32_32x32x16_fp8_fp8 v[0:15], v[120:121], v[44:45], v[0:15]
	s_nop 7
	s_nop 2
	scratch_store_dwordx4 off, v[0:3], off offset:2040 ; 16-byte Folded Spill
	s_nop 0
	scratch_store_dwordx4 off, v[4:7], off offset:2056 ; 16-byte Folded Spill
	scratch_store_dwordx4 off, v[8:11], off offset:2072 ; 16-byte Folded Spill
	;; [unrolled: 1-line block ×3, first 2 shown]
	v_mfma_f32_32x32x16_fp8_fp8 v[16:31], v[122:123], v[50:51], v[16:31]
	v_mov_b64_e32 v[50:51], v[38:39]
	scratch_load_dwordx4 v[0:3], off, off offset:2872 ; 16-byte Folded Reload
	scratch_load_dwordx4 v[4:7], off, off offset:2888 ; 16-byte Folded Reload
	;; [unrolled: 1-line block ×4, first 2 shown]
	s_nop 5
	scratch_store_dwordx4 off, v[16:19], off offset:3192 ; 16-byte Folded Spill
	s_nop 0
	scratch_store_dwordx4 off, v[20:23], off offset:3208 ; 16-byte Folded Spill
	scratch_store_dwordx4 off, v[24:27], off offset:3224 ; 16-byte Folded Spill
	;; [unrolled: 1-line block ×3, first 2 shown]
	v_mfma_f32_32x32x16_fp8_fp8 v[104:119], v[122:123], v[34:35], v[104:119]
	s_nop 7
	s_nop 2
	scratch_store_dwordx4 off, v[104:107], off offset:3128 ; 16-byte Folded Spill
	s_nop 0
	scratch_store_dwordx4 off, v[108:111], off offset:3144 ; 16-byte Folded Spill
	scratch_store_dwordx4 off, v[112:115], off offset:3160 ; 16-byte Folded Spill
	scratch_store_dwordx4 off, v[116:119], off offset:3176 ; 16-byte Folded Spill
	v_mfma_f32_32x32x16_fp8_fp8 v[88:103], v[122:123], v[54:55], v[88:103]
	s_nop 7
	s_nop 2
	scratch_store_dwordx4 off, v[88:91], off offset:3064 ; 16-byte Folded Spill
	s_nop 0
	scratch_store_dwordx4 off, v[92:95], off offset:3080 ; 16-byte Folded Spill
	scratch_store_dwordx4 off, v[96:99], off offset:3096 ; 16-byte Folded Spill
	;; [unrolled: 1-line block ×3, first 2 shown]
	v_mfma_f32_32x32x16_fp8_fp8 v[72:87], v[122:123], v[42:43], v[72:87]
	v_mov_b64_e32 v[16:17], v[32:33]
	v_mov_b64_e32 v[90:91], v[42:43]
	s_nop 7
	s_nop 0
	scratch_store_dwordx4 off, v[72:75], off offset:3000 ; 16-byte Folded Spill
	s_nop 0
	scratch_store_dwordx4 off, v[76:79], off offset:3016 ; 16-byte Folded Spill
	scratch_store_dwordx4 off, v[80:83], off offset:3032 ; 16-byte Folded Spill
	scratch_store_dwordx4 off, v[84:87], off offset:3048 ; 16-byte Folded Spill
	v_mfma_f32_32x32x16_fp8_fp8 v[56:71], v[122:123], v[50:51], v[56:71]
	s_nop 7
	s_nop 2
	scratch_store_dwordx4 off, v[56:59], off offset:2936 ; 16-byte Folded Spill
	s_nop 0
	scratch_store_dwordx4 off, v[60:63], off offset:2952 ; 16-byte Folded Spill
	scratch_store_dwordx4 off, v[64:67], off offset:2968 ; 16-byte Folded Spill
	;; [unrolled: 1-line block ×3, first 2 shown]
	v_mov_b64_e32 v[18:19], v[34:35]
	v_mov_b64_e32 v[88:89], v[40:41]
	;; [unrolled: 1-line block ×3, first 2 shown]
	scratch_load_dwordx4 v[28:31], off, off offset:2040 ; 16-byte Folded Reload
	scratch_load_dwordx4 v[32:35], off, off offset:2056 ; 16-byte Folded Reload
	;; [unrolled: 1-line block ×4, first 2 shown]
	s_waitcnt vmcnt(24)
	v_mfma_f32_32x32x16_fp8_fp8 v[0:15], v[120:121], v[124:125], v[0:15]
	v_mov_b64_e32 v[72:73], v[88:89]
	v_mov_b64_e32 v[74:75], v[90:91]
	s_waitcnt vmcnt(0)
	v_mfma_f32_32x32x16_fp8_fp8 v[28:43], v[122:123], v[46:47], v[28:43]
	s_nop 7
	s_nop 2
	scratch_store_dwordx4 off, v[28:31], off offset:2040 ; 16-byte Folded Spill
	s_nop 0
	scratch_store_dwordx4 off, v[32:35], off offset:2056 ; 16-byte Folded Spill
	scratch_store_dwordx4 off, v[36:39], off offset:2072 ; 16-byte Folded Spill
	;; [unrolled: 1-line block ×3, first 2 shown]
	v_mfma_f32_32x32x16_fp8_fp8 v[0:15], v[122:123], v[126:127], v[0:15]
	s_nop 7
	s_nop 2
	scratch_store_dwordx4 off, v[0:3], off offset:2872 ; 16-byte Folded Spill
	s_nop 0
	scratch_store_dwordx4 off, v[4:7], off offset:2888 ; 16-byte Folded Spill
	scratch_store_dwordx4 off, v[8:11], off offset:2904 ; 16-byte Folded Spill
	;; [unrolled: 1-line block ×3, first 2 shown]
	v_mov_b64_e32 v[42:43], v[18:19]
	scratch_load_dwordx4 v[20:23], off, off offset:2808 ; 16-byte Folded Reload
	scratch_load_dwordx4 v[24:27], off, off offset:2824 ; 16-byte Folded Reload
	;; [unrolled: 1-line block ×10, first 2 shown]
	v_mov_b64_e32 v[40:41], v[16:17]
	scratch_load_dwordx4 v[4:7], off, off offset:2296 ; 16-byte Folded Reload
	scratch_load_dwordx4 v[8:11], off, off offset:2312 ; 16-byte Folded Reload
	scratch_load_dwordx4 v[12:15], off, off offset:2328 ; 16-byte Folded Reload
	scratch_load_dwordx4 v[16:19], off, off offset:2344 ; 16-byte Folded Reload
	s_waitcnt vmcnt(0)
	v_mfma_f32_32x32x16_fp8_fp8 v[4:19], v[0:1], v[52:53], v[4:19]
	s_nop 7
	s_nop 2
	v_mov_b64_e32 v[122:123], v[18:19]
	v_mov_b64_e32 v[120:121], v[16:17]
	v_mov_b64_e32 v[118:119], v[14:15]
	v_mov_b64_e32 v[116:117], v[12:13]
	v_mov_b64_e32 v[114:115], v[10:11]
	v_mov_b64_e32 v[112:113], v[8:9]
	v_mov_b64_e32 v[110:111], v[6:7]
	v_mov_b64_e32 v[108:109], v[4:5]
	scratch_load_dwordx4 v[4:7], off, off offset:2232 ; 16-byte Folded Reload
	scratch_load_dwordx4 v[8:11], off, off offset:2248 ; 16-byte Folded Reload
	scratch_load_dwordx4 v[12:15], off, off offset:2264 ; 16-byte Folded Reload
	scratch_load_dwordx4 v[16:19], off, off offset:2280 ; 16-byte Folded Reload
	s_waitcnt vmcnt(0)
	v_mfma_f32_32x32x16_fp8_fp8 v[4:19], v[0:1], v[72:73], v[4:19]
	s_nop 7
	s_nop 2
	v_mov_b64_e32 v[106:107], v[18:19]
	v_mov_b64_e32 v[104:105], v[16:17]
	v_mov_b64_e32 v[102:103], v[14:15]
	v_mov_b64_e32 v[100:101], v[12:13]
	v_mov_b64_e32 v[98:99], v[10:11]
	v_mov_b64_e32 v[96:97], v[8:9]
	v_mov_b64_e32 v[94:95], v[6:7]
	;; [unrolled: 16-line block ×3, first 2 shown]
	v_mov_b64_e32 v[76:77], v[4:5]
	scratch_load_dwordx4 v[4:7], off, off offset:1912 ; 16-byte Folded Reload
	scratch_load_dwordx4 v[8:11], off, off offset:1928 ; 16-byte Folded Reload
	;; [unrolled: 1-line block ×4, first 2 shown]
	v_mfma_f32_32x32x16_fp8_fp8 v[20:35], v[0:1], v[36:37], v[20:35]
	v_mfma_f32_32x32x16_fp8_fp8 v[56:71], v[0:1], v[40:41], v[56:71]
	s_waitcnt vmcnt(0)
	v_mfma_f32_32x32x16_fp8_fp8 v[4:19], v[0:1], v[44:45], v[4:19]
	s_nop 7
	s_nop 2
	scratch_store_dwordx4 off, v[4:7], off offset:1912 ; 16-byte Folded Spill
	s_nop 0
	scratch_store_dwordx4 off, v[8:11], off offset:1928 ; 16-byte Folded Spill
	scratch_store_dwordx4 off, v[12:15], off offset:1944 ; 16-byte Folded Spill
	;; [unrolled: 1-line block ×3, first 2 shown]
	v_mfma_f32_32x32x16_fp8_fp8 v[20:35], v[2:3], v[38:39], v[20:35]
	scratch_load_dwordx4 v[4:7], off, off offset:2104 ; 16-byte Folded Reload
	scratch_load_dwordx4 v[8:11], off, off offset:2120 ; 16-byte Folded Reload
	;; [unrolled: 1-line block ×4, first 2 shown]
	s_nop 6
	scratch_store_dwordx4 off, v[20:23], off offset:2808 ; 16-byte Folded Spill
	s_nop 0
	scratch_store_dwordx4 off, v[24:27], off offset:2824 ; 16-byte Folded Spill
	scratch_store_dwordx4 off, v[28:31], off offset:2840 ; 16-byte Folded Spill
	;; [unrolled: 1-line block ×3, first 2 shown]
	v_mfma_f32_32x32x16_fp8_fp8 v[56:71], v[2:3], v[42:43], v[56:71]
	s_nop 7
	s_nop 2
	scratch_store_dwordx4 off, v[56:59], off offset:2360 ; 16-byte Folded Spill
	s_nop 0
	scratch_store_dwordx4 off, v[60:63], off offset:2376 ; 16-byte Folded Spill
	scratch_store_dwordx4 off, v[64:67], off offset:2392 ; 16-byte Folded Spill
	scratch_store_dwordx4 off, v[68:71], off offset:2408 ; 16-byte Folded Spill
	v_mfma_f32_32x32x16_fp8_fp8 v[108:123], v[2:3], v[54:55], v[108:123]
	v_mov_b64_e32 v[32:33], v[40:41]
	s_nop 7
	s_nop 1
	scratch_store_dwordx4 off, v[108:111], off offset:2296 ; 16-byte Folded Spill
	s_nop 0
	scratch_store_dwordx4 off, v[112:115], off offset:2312 ; 16-byte Folded Spill
	scratch_store_dwordx4 off, v[116:119], off offset:2328 ; 16-byte Folded Spill
	scratch_store_dwordx4 off, v[120:123], off offset:2344 ; 16-byte Folded Spill
	v_mfma_f32_32x32x16_fp8_fp8 v[92:107], v[2:3], v[74:75], v[92:107]
	v_mov_b64_e32 v[28:29], v[52:53]
	;; [unrolled: 9-line block ×3, first 2 shown]
	s_nop 7
	s_nop 1
	scratch_store_dwordx4 off, v[76:79], off offset:2168 ; 16-byte Folded Spill
	s_nop 0
	scratch_store_dwordx4 off, v[80:83], off offset:2184 ; 16-byte Folded Spill
	scratch_store_dwordx4 off, v[84:87], off offset:2200 ; 16-byte Folded Spill
	;; [unrolled: 1-line block ×3, first 2 shown]
	v_mov_b64_e32 v[34:35], v[42:43]
	v_mov_b64_e32 v[30:31], v[54:55]
	;; [unrolled: 1-line block ×3, first 2 shown]
	scratch_load_dwordx4 v[40:43], off, off offset:1912 ; 16-byte Folded Reload
	scratch_load_dwordx4 v[44:47], off, off offset:1928 ; 16-byte Folded Reload
	;; [unrolled: 1-line block ×5, first 2 shown]
	s_waitcnt vmcnt(25)
	v_mfma_f32_32x32x16_fp8_fp8 v[4:19], v[0:1], v[124:125], v[4:19]
	v_mov_b64_e32 v[56:57], v[72:73]
	v_mov_b64_e32 v[58:59], v[74:75]
	s_waitcnt vmcnt(0)
	v_mfma_f32_32x32x16_fp8_fp8 v[40:55], v[2:3], v[22:23], v[40:55]
	s_nop 7
	s_nop 2
	scratch_store_dwordx4 off, v[40:43], off offset:1912 ; 16-byte Folded Spill
	s_nop 0
	scratch_store_dwordx4 off, v[44:47], off offset:1928 ; 16-byte Folded Spill
	scratch_store_dwordx4 off, v[48:51], off offset:1944 ; 16-byte Folded Spill
	;; [unrolled: 1-line block ×3, first 2 shown]
	v_mfma_f32_32x32x16_fp8_fp8 v[4:19], v[2:3], v[126:127], v[4:19]
	s_nop 7
	s_nop 2
	scratch_store_dwordx4 off, v[4:7], off offset:2104 ; 16-byte Folded Spill
	s_nop 0
	scratch_store_dwordx4 off, v[8:11], off offset:2120 ; 16-byte Folded Spill
	scratch_store_dwordx4 off, v[12:15], off offset:2136 ; 16-byte Folded Spill
	;; [unrolled: 1-line block ×3, first 2 shown]
	scratch_load_dwordx4 v[0:3], off, off offset:3576 ; 16-byte Folded Reload
	s_nop 0
	scratch_load_dwordx4 v[4:7], off, off offset:3592 ; 16-byte Folded Reload
	scratch_load_dwordx4 v[8:11], off, off offset:3608 ; 16-byte Folded Reload
	;; [unrolled: 1-line block ×8, first 2 shown]
	s_waitcnt vmcnt(4)
	v_mfma_f32_32x32x16_fp8_fp8 v[0:15], v[48:49], v[36:37], v[0:15]
	scratch_load_dwordx4 v[80:83], off, off offset:3448 ; 16-byte Folded Reload
	scratch_load_dwordx4 v[84:87], off, off offset:3464 ; 16-byte Folded Reload
	;; [unrolled: 1-line block ×8, first 2 shown]
	v_mov_b64_e32 v[52:53], v[124:125]
	v_mov_b64_e32 v[54:55], v[126:127]
	;; [unrolled: 1-line block ×4, first 2 shown]
	s_waitcnt vmcnt(8)
	v_mfma_f32_32x32x16_fp8_fp8 v[96:111], v[48:49], v[32:33], v[96:111]
	v_mfma_f32_32x32x16_fp8_fp8 v[0:15], v[50:51], v[38:39], v[0:15]
	;; [unrolled: 1-line block ×3, first 2 shown]
	scratch_load_dwordx4 v[32:35], off, off offset:3320 ; 16-byte Folded Reload
	scratch_load_dwordx4 v[36:39], off, off offset:3336 ; 16-byte Folded Reload
	;; [unrolled: 1-line block ×8, first 2 shown]
	s_waitcnt vmcnt(12)
	v_mfma_f32_32x32x16_fp8_fp8 v[80:95], v[48:49], v[28:29], v[80:95]
	s_waitcnt vmcnt(4)
	v_mfma_f32_32x32x16_fp8_fp8 v[32:47], v[48:49], v[16:17], v[32:47]
	v_mfma_f32_32x32x16_fp8_fp8 v[80:95], v[50:51], v[30:31], v[80:95]
	v_mov_b64_e32 v[28:29], v[56:57]
	v_mov_b64_e32 v[30:31], v[58:59]
	v_mfma_f32_32x32x16_fp8_fp8 v[32:47], v[50:51], v[18:19], v[32:47]
	v_mov_b64_e32 v[16:17], v[20:21]
	v_mov_b64_e32 v[18:19], v[22:23]
	v_mfma_f32_32x32x16_fp8_fp8 v[64:79], v[48:49], v[28:29], v[64:79]
	s_waitcnt vmcnt(0)
	v_mfma_f32_32x32x16_fp8_fp8 v[112:127], v[48:49], v[16:17], v[112:127]
	v_mfma_f32_32x32x16_fp8_fp8 v[64:79], v[50:51], v[30:31], v[64:79]
	;; [unrolled: 1-line block ×3, first 2 shown]
	scratch_load_dwordx4 v[16:19], off, off offset:3640 ; 16-byte Folded Reload
	scratch_load_dwordx4 v[20:23], off, off offset:3656 ; 16-byte Folded Reload
	;; [unrolled: 1-line block ×4, first 2 shown]
	s_waitcnt vmcnt(0)
	v_mfma_f32_32x32x16_fp8_fp8 v[16:31], v[48:49], v[52:53], v[16:31]
	v_mfma_f32_32x32x16_fp8_fp8 v[16:31], v[50:51], v[54:55], v[16:31]
	scratch_load_dwordx4 v[48:51], off, off offset:2744 ; 16-byte Folded Reload
	scratch_load_dwordx4 v[52:55], off, off offset:2760 ; 16-byte Folded Reload
	;; [unrolled: 1-line block ×4, first 2 shown]
	s_waitcnt vmcnt(0)
	scratch_store_dwordx4 off, v[60:63], off offset:48
	scratch_store_dwordx4 off, v[56:59], off offset:32
	;; [unrolled: 1-line block ×3, first 2 shown]
	scratch_store_dwordx4 off, v[48:51], off
	scratch_load_dwordx4 v[48:51], off, off offset:2680 ; 16-byte Folded Reload
	s_nop 0
	scratch_load_dwordx4 v[52:55], off, off offset:2696 ; 16-byte Folded Reload
	scratch_load_dwordx4 v[56:59], off, off offset:2712 ; 16-byte Folded Reload
	scratch_load_dwordx4 v[60:63], off, off offset:2728 ; 16-byte Folded Reload
	s_waitcnt vmcnt(0)
	scratch_store_dwordx4 off, v[60:63], off offset:112
	scratch_store_dwordx4 off, v[56:59], off offset:96
	scratch_store_dwordx4 off, v[52:55], off offset:80
	scratch_store_dwordx4 off, v[48:51], off offset:64
	scratch_load_dwordx4 v[48:51], off, off offset:2616 ; 16-byte Folded Reload
	s_nop 0
	scratch_load_dwordx4 v[52:55], off, off offset:2632 ; 16-byte Folded Reload
	scratch_load_dwordx4 v[56:59], off, off offset:2648 ; 16-byte Folded Reload
	scratch_load_dwordx4 v[60:63], off, off offset:2664 ; 16-byte Folded Reload
	s_waitcnt vmcnt(0)
	scratch_store_dwordx4 off, v[60:63], off offset:176
	scratch_store_dwordx4 off, v[56:59], off offset:160
	scratch_store_dwordx4 off, v[52:55], off offset:144
	scratch_store_dwordx4 off, v[48:51], off offset:128
	;; [unrolled: 10-line block ×20, first 2 shown]
	scratch_store_dwordx4 off, v[12:15], off offset:1392
	scratch_store_dwordx4 off, v[8:11], off offset:1376
	scratch_store_dwordx4 off, v[4:7], off offset:1360
	scratch_store_dwordx4 off, v[0:3], off offset:3576 ; 16-byte Folded Spill
	s_nop 0
	scratch_store_dwordx4 off, v[4:7], off offset:3592 ; 16-byte Folded Spill
	scratch_store_dwordx4 off, v[8:11], off offset:3608 ; 16-byte Folded Spill
	scratch_store_dwordx4 off, v[12:15], off offset:3624 ; 16-byte Folded Spill
	scratch_store_dwordx4 off, v[0:3], off offset:1344
	scratch_store_dwordx4 off, v[108:111], off offset:1456
	scratch_store_dwordx4 off, v[104:107], off offset:1440
	scratch_store_dwordx4 off, v[100:103], off offset:1424
	scratch_store_dwordx4 off, v[96:99], off offset:3512 ; 16-byte Folded Spill
	s_nop 0
	scratch_store_dwordx4 off, v[100:103], off offset:3528 ; 16-byte Folded Spill
	scratch_store_dwordx4 off, v[104:107], off offset:3544 ; 16-byte Folded Spill
	scratch_store_dwordx4 off, v[108:111], off offset:3560 ; 16-byte Folded Spill
	scratch_store_dwordx4 off, v[96:99], off offset:1408
	;; [unrolled: 9-line block ×5, first 2 shown]
	scratch_store_dwordx4 off, v[124:127], off offset:1712
	scratch_store_dwordx4 off, v[120:123], off offset:1696
	;; [unrolled: 1-line block ×7, first 2 shown]
	scratch_store_dwordx4 off, v[16:19], off offset:3640 ; 16-byte Folded Spill
	s_nop 0
	scratch_store_dwordx4 off, v[20:23], off offset:3656 ; 16-byte Folded Spill
	scratch_store_dwordx4 off, v[24:27], off offset:3672 ; 16-byte Folded Spill
	;; [unrolled: 1-line block ×3, first 2 shown]
	scratch_store_dwordx4 off, v[16:19], off offset:1728
.LBB55_11:                              ;   in Loop: Header=BB55_12 Depth=2
	s_or_b64 exec, exec, s[2:3]
	scratch_load_dwordx2 v[0:1], off, off offset:1904 ; 8-byte Folded Reload
	s_addk_i32 s44, 0x400
	s_cmp_ge_u32 s44, s20
	s_waitcnt vmcnt(0)
	v_add_u32_e32 v0, 0x400, v0
	scratch_store_dwordx2 off, v[0:1], off offset:1904 ; 8-byte Folded Spill
	s_cbranch_scc1 .LBB55_31
.LBB55_12:                              ;   Parent Loop BB55_8 Depth=1
                                        ; =>  This Loop Header: Depth=2
                                        ;       Child Loop BB55_14 Depth 3
	scratch_load_dwordx2 v[16:17], off, off offset:3704 ; 8-byte Folded Reload
	s_waitcnt vmcnt(0)
	v_add_u32_e32 v18, s44, v16
	v_cmp_gt_u32_e32 vcc, s20, v18
	s_and_saveexec_b64 s[2:3], vcc
	s_cbranch_execz .LBB55_11
; %bb.13:                               ;   in Loop: Header=BB55_12 Depth=2
	scratch_store_dwordx4 off, v[112:115], off offset:3712 ; 16-byte Folded Spill
	s_nop 0
	scratch_store_dwordx4 off, v[116:119], off offset:3728 ; 16-byte Folded Spill
	scratch_store_dwordx4 off, v[120:123], off offset:3744 ; 16-byte Folded Spill
	;; [unrolled: 1-line block ×3, first 2 shown]
	scratch_load_dwordx2 v[0:1], off, off offset:1904 ; 8-byte Folded Reload
	v_mov_b32_e32 v19, 0x700
	s_mov_b32 s5, 0
	s_mov_b64 s[6:7], 0
	s_waitcnt vmcnt(0) lgkmcnt(0)
	v_lshl_add_u64 v[16:17], s[26:27], 0, v[0:1]
	scratch_load_dwordx2 v[0:1], off, off offset:3840 ; 8-byte Folded Reload
.LBB55_14:                              ;   Parent Loop BB55_8 Depth=1
                                        ;     Parent Loop BB55_12 Depth=2
                                        ; =>    This Inner Loop Header: Depth=3
	global_load_dwordx4 v[20:23], v[16:17], off nt
	s_add_i32 s10, s5, 1
	s_cmp_gt_u32 s5, 5
	s_cselect_b64 s[8:9], -1, 0
	v_lshl_add_u64 v[16:17], v[16:17], 0, s[34:35]
	s_mov_b32 s5, s10
	s_waitcnt vmcnt(0)
	scratch_store_dwordx4 v19, v[20:23], off
	s_nop 1
	v_add_u32_e32 v20, s10, v0
	v_cmp_le_u32_e32 vcc, s22, v20
	s_or_b64 s[8:9], s[8:9], vcc
	s_and_b64 s[8:9], exec, s[8:9]
	v_add_u32_e32 v19, 16, v19
	s_or_b64 s[6:7], s[8:9], s[6:7]
	s_andn2_b64 exec, exec, s[6:7]
	s_cbranch_execnz .LBB55_14
; %bb.15:                               ;   in Loop: Header=BB55_12 Depth=2
	s_or_b64 exec, exec, s[6:7]
	v_cmp_lt_u32_e32 vcc, s21, v18
                                        ; implicit-def: $vgpr48_vgpr49
	s_and_saveexec_b64 s[6:7], vcc
	s_xor_b64 s[6:7], exec, s[6:7]
	s_cbranch_execz .LBB55_17
; %bb.16:                               ;   in Loop: Header=BB55_12 Depth=2
	global_load_dwordx4 v[48:51], v18, s[24:25]
.LBB55_17:                              ;   in Loop: Header=BB55_12 Depth=2
	s_andn2_saveexec_b64 s[6:7], s[6:7]
	s_cbranch_execz .LBB55_19
; %bb.18:                               ;   in Loop: Header=BB55_12 Depth=2
	s_waitcnt vmcnt(0)
	ds_read_b128 v[48:51], v18
.LBB55_19:                              ;   in Loop: Header=BB55_12 Depth=2
	s_or_b64 exec, exec, s[6:7]
	v_add_u32_e32 v16, s20, v18
	v_cmp_lt_u32_e32 vcc, s21, v16
                                        ; implicit-def: $vgpr0_vgpr1
	scratch_store_dwordx4 off, v[0:3], off offset:3288 ; 16-byte Folded Spill
	s_and_saveexec_b64 s[6:7], vcc
	s_xor_b64 s[6:7], exec, s[6:7]
	s_cbranch_execz .LBB55_21
; %bb.20:                               ;   in Loop: Header=BB55_12 Depth=2
	global_load_dwordx4 v[0:3], v16, s[24:25]
	s_waitcnt vmcnt(0)
	scratch_store_dwordx4 off, v[0:3], off offset:3288 ; 16-byte Folded Spill
.LBB55_21:                              ;   in Loop: Header=BB55_12 Depth=2
	s_andn2_saveexec_b64 s[6:7], s[6:7]
	s_cbranch_execz .LBB55_23
; %bb.22:                               ;   in Loop: Header=BB55_12 Depth=2
	ds_read_b128 v[0:3], v16
	s_waitcnt lgkmcnt(0)
	scratch_store_dwordx4 off, v[0:3], off offset:3288 ; 16-byte Folded Spill
.LBB55_23:                              ;   in Loop: Header=BB55_12 Depth=2
	s_or_b64 exec, exec, s[6:7]
	v_add_u32_e32 v16, s20, v16
	v_cmp_lt_u32_e32 vcc, s21, v16
                                        ; implicit-def: $vgpr0_vgpr1
	scratch_store_dwordx4 off, v[0:3], off offset:3272 ; 16-byte Folded Spill
	s_and_saveexec_b64 s[6:7], vcc
	s_xor_b64 s[6:7], exec, s[6:7]
	s_cbranch_execz .LBB55_25
; %bb.24:                               ;   in Loop: Header=BB55_12 Depth=2
	global_load_dwordx4 v[0:3], v16, s[24:25]
	s_waitcnt vmcnt(0)
	scratch_store_dwordx4 off, v[0:3], off offset:3272 ; 16-byte Folded Spill
.LBB55_25:                              ;   in Loop: Header=BB55_12 Depth=2
	s_andn2_saveexec_b64 s[6:7], s[6:7]
	s_cbranch_execz .LBB55_27
; %bb.26:                               ;   in Loop: Header=BB55_12 Depth=2
	ds_read_b128 v[0:3], v16
	s_waitcnt lgkmcnt(0)
	scratch_store_dwordx4 off, v[0:3], off offset:3272 ; 16-byte Folded Spill
.LBB55_27:                              ;   in Loop: Header=BB55_12 Depth=2
	s_or_b64 exec, exec, s[6:7]
	v_add_u32_e32 v16, s20, v16
	v_cmp_lt_u32_e32 vcc, s21, v16
                                        ; implicit-def: $vgpr0_vgpr1
	scratch_store_dwordx4 off, v[0:3], off offset:3256 ; 16-byte Folded Spill
	s_and_saveexec_b64 s[6:7], vcc
	s_xor_b64 s[6:7], exec, s[6:7]
	s_cbranch_execz .LBB55_29
; %bb.28:                               ;   in Loop: Header=BB55_12 Depth=2
	global_load_dwordx4 v[0:3], v16, s[24:25]
                                        ; implicit-def: $vgpr16
	s_waitcnt vmcnt(0)
	scratch_store_dwordx4 off, v[0:3], off offset:3256 ; 16-byte Folded Spill
.LBB55_29:                              ;   in Loop: Header=BB55_12 Depth=2
	s_andn2_saveexec_b64 s[6:7], s[6:7]
	s_cbranch_execz .LBB55_10
; %bb.30:                               ;   in Loop: Header=BB55_12 Depth=2
	ds_read_b128 v[0:3], v16
	s_waitcnt lgkmcnt(0)
	scratch_store_dwordx4 off, v[0:3], off offset:3256 ; 16-byte Folded Spill
	s_branch .LBB55_10
.LBB55_31:                              ;   in Loop: Header=BB55_8 Depth=1
	scratch_load_dword v20, off, off offset:3872 ; 4-byte Folded Reload
	s_mov_b32 s2, 0
.LBB55_32:                              ;   Parent Loop BB55_8 Depth=1
                                        ; =>  This Inner Loop Header: Depth=2
	s_add_i32 s3, s2, 0
	scratch_load_dwordx4 v[0:3], off, s3 offset:48
	scratch_load_dwordx4 v[4:7], off, s3 offset:32
	scratch_load_dwordx4 v[8:11], off, s3
	scratch_load_dwordx4 v[12:15], off, s3 offset:16
	s_add_i32 s2, s2, 64
	s_cmpk_lg_i32 s2, 0x1c0
	s_waitcnt vmcnt(2)
	;;#ASMSTART
	v_add_f32 v4, v5, v4 row_shl:1 bound_ctrl:0 
	;;#ASMEND
	s_nop 0
	;;#ASMSTART
	v_add_f32 v4, v6, v4 row_shl:2 bound_ctrl:0 
	;;#ASMEND
	s_waitcnt vmcnt(1)
	;;#ASMSTART
	v_add_f32 v8, v9, v8 row_shl:1 bound_ctrl:0 
	;;#ASMEND
	;;#ASMSTART
	v_add_f32 v4, v7, v4 row_shl:3 bound_ctrl:0 
	;;#ASMEND
	s_nop 0
	;;#ASMSTART
	v_add_f32 v8, v10, v8 row_shl:2 bound_ctrl:0 
	;;#ASMEND
	;;#ASMSTART
	v_add_f32 v4, v0, v4 row_shl:8 bound_ctrl:0 
	;;#ASMEND
	s_nop 0
	;;#ASMSTART
	v_add_f32 v8, v11, v8 row_shl:3 bound_ctrl:0 
	;;#ASMEND
	;;#ASMSTART
	v_add_f32 v4, v1, v4 row_shl:9 bound_ctrl:0 
	;;#ASMEND
	s_waitcnt vmcnt(0)
	;;#ASMSTART
	v_add_f32 v8, v12, v8 row_shl:8 bound_ctrl:0 
	;;#ASMEND
	;;#ASMSTART
	v_add_f32 v4, v2, v4 row_shl:10 bound_ctrl:0 
	;;#ASMEND
	s_nop 0
	;;#ASMSTART
	v_add_f32 v8, v13, v8 row_shl:9 bound_ctrl:0 
	;;#ASMEND
	;;#ASMSTART
	v_add_f32 v4, v3, v4 row_shl:11 bound_ctrl:0 
	;;#ASMEND
	ds_bpermute_b32 v0, v20, v4 offset:208
	;;#ASMSTART
	v_add_f32 v8, v14, v8 row_shl:10 bound_ctrl:0 
	;;#ASMEND
	s_waitcnt lgkmcnt(0)
	v_add_f32_e32 v0, v4, v0
	;;#ASMSTART
	v_add_f32 v8, v15, v8 row_shl:11 bound_ctrl:0 
	;;#ASMEND
	ds_bpermute_b32 v1, v20, v8 offset:144
	ds_bpermute_b32 v0, v20, v0 offset:64
	s_waitcnt lgkmcnt(1)
	v_add_f32_e32 v1, v8, v1
	s_waitcnt lgkmcnt(0)
	v_add_f32_e32 v0, v1, v0
	scratch_store_dword off, v0, s3
	s_cbranch_scc1 .LBB55_32
; %bb.33:                               ;   in Loop: Header=BB55_8 Depth=1
	v_or_b32_e32 v0, 0x90, v20
	v_or_b32_e32 v1, 0xd0, v20
	;; [unrolled: 1-line block ×3, first 2 shown]
	s_movk_i32 s2, 0x1c0
.LBB55_34:                              ;   Parent Loop BB55_8 Depth=1
                                        ; =>  This Inner Loop Header: Depth=2
	s_add_i32 s3, s2, 0
	scratch_load_dwordx4 v[4:7], off, s3 offset:48
	scratch_load_dwordx4 v[8:11], off, s3 offset:32
	scratch_load_dwordx4 v[12:15], off, s3
	scratch_load_dwordx4 v[16:19], off, s3 offset:16
	s_add_i32 s2, s2, 64
	s_cmpk_lg_i32 s2, 0x380
	s_waitcnt vmcnt(2)
	;;#ASMSTART
	v_add_f32 v8, v9, v8 row_shl:1 bound_ctrl:0 
	;;#ASMEND
	s_nop 0
	;;#ASMSTART
	v_add_f32 v8, v10, v8 row_shl:2 bound_ctrl:0 
	;;#ASMEND
	s_waitcnt vmcnt(1)
	;;#ASMSTART
	v_add_f32 v12, v13, v12 row_shl:1 bound_ctrl:0 
	;;#ASMEND
	;;#ASMSTART
	v_add_f32 v8, v11, v8 row_shl:3 bound_ctrl:0 
	;;#ASMEND
	s_nop 0
	;;#ASMSTART
	v_add_f32 v12, v14, v12 row_shl:2 bound_ctrl:0 
	;;#ASMEND
	;;#ASMSTART
	v_add_f32 v8, v4, v8 row_shl:8 bound_ctrl:0 
	;;#ASMEND
	s_nop 0
	;;#ASMSTART
	v_add_f32 v12, v15, v12 row_shl:3 bound_ctrl:0 
	;;#ASMEND
	;;#ASMSTART
	v_add_f32 v8, v5, v8 row_shl:9 bound_ctrl:0 
	;;#ASMEND
	s_waitcnt vmcnt(0)
	;;#ASMSTART
	v_add_f32 v12, v16, v12 row_shl:8 bound_ctrl:0 
	;;#ASMEND
	;;#ASMSTART
	v_add_f32 v8, v6, v8 row_shl:10 bound_ctrl:0 
	;;#ASMEND
	s_nop 0
	;;#ASMSTART
	v_add_f32 v12, v17, v12 row_shl:9 bound_ctrl:0 
	;;#ASMEND
	;;#ASMSTART
	v_add_f32 v8, v7, v8 row_shl:11 bound_ctrl:0 
	;;#ASMEND
	ds_bpermute_b32 v3, v1, v8
	;;#ASMSTART
	v_add_f32 v12, v18, v12 row_shl:10 bound_ctrl:0 
	;;#ASMEND
	s_waitcnt lgkmcnt(0)
	v_add_f32_e32 v3, v8, v3
	;;#ASMSTART
	v_add_f32 v12, v19, v12 row_shl:11 bound_ctrl:0 
	;;#ASMEND
	ds_bpermute_b32 v4, v0, v12
	ds_bpermute_b32 v3, v2, v3
	s_waitcnt lgkmcnt(1)
	v_add_f32_e32 v4, v12, v4
	s_waitcnt lgkmcnt(0)
	v_add_f32_e32 v3, v4, v3
	scratch_store_dword off, v3, s3
	s_cbranch_scc1 .LBB55_34
; %bb.35:                               ;   in Loop: Header=BB55_8 Depth=1
	s_movk_i32 s2, 0x380
.LBB55_36:                              ;   Parent Loop BB55_8 Depth=1
                                        ; =>  This Inner Loop Header: Depth=2
	s_add_i32 s3, s2, 0
	scratch_load_dwordx4 v[4:7], off, s3 offset:48
	scratch_load_dwordx4 v[8:11], off, s3 offset:32
	scratch_load_dwordx4 v[12:15], off, s3
	scratch_load_dwordx4 v[16:19], off, s3 offset:16
	s_add_i32 s2, s2, 64
	s_cmpk_lg_i32 s2, 0x540
	s_waitcnt vmcnt(2)
	;;#ASMSTART
	v_add_f32 v8, v9, v8 row_shl:1 bound_ctrl:0 
	;;#ASMEND
	s_nop 0
	;;#ASMSTART
	v_add_f32 v8, v10, v8 row_shl:2 bound_ctrl:0 
	;;#ASMEND
	s_waitcnt vmcnt(1)
	;;#ASMSTART
	v_add_f32 v12, v13, v12 row_shl:1 bound_ctrl:0 
	;;#ASMEND
	;;#ASMSTART
	v_add_f32 v8, v11, v8 row_shl:3 bound_ctrl:0 
	;;#ASMEND
	s_nop 0
	;;#ASMSTART
	v_add_f32 v12, v14, v12 row_shl:2 bound_ctrl:0 
	;;#ASMEND
	;;#ASMSTART
	v_add_f32 v8, v4, v8 row_shl:8 bound_ctrl:0 
	;;#ASMEND
	s_nop 0
	;;#ASMSTART
	v_add_f32 v12, v15, v12 row_shl:3 bound_ctrl:0 
	;;#ASMEND
	;;#ASMSTART
	v_add_f32 v8, v5, v8 row_shl:9 bound_ctrl:0 
	;;#ASMEND
	s_waitcnt vmcnt(0)
	;;#ASMSTART
	v_add_f32 v12, v16, v12 row_shl:8 bound_ctrl:0 
	;;#ASMEND
	;;#ASMSTART
	v_add_f32 v8, v6, v8 row_shl:10 bound_ctrl:0 
	;;#ASMEND
	s_nop 0
	;;#ASMSTART
	v_add_f32 v12, v17, v12 row_shl:9 bound_ctrl:0 
	;;#ASMEND
	;;#ASMSTART
	v_add_f32 v8, v7, v8 row_shl:11 bound_ctrl:0 
	;;#ASMEND
	ds_bpermute_b32 v3, v1, v8
	;;#ASMSTART
	v_add_f32 v12, v18, v12 row_shl:10 bound_ctrl:0 
	;;#ASMEND
	s_waitcnt lgkmcnt(0)
	v_add_f32_e32 v3, v8, v3
	;;#ASMSTART
	v_add_f32 v12, v19, v12 row_shl:11 bound_ctrl:0 
	;;#ASMEND
	ds_bpermute_b32 v4, v0, v12
	ds_bpermute_b32 v3, v2, v3
	s_waitcnt lgkmcnt(1)
	v_add_f32_e32 v4, v12, v4
	s_waitcnt lgkmcnt(0)
	v_add_f32_e32 v3, v4, v3
	scratch_store_dword off, v3, s3
	s_cbranch_scc1 .LBB55_36
; %bb.37:                               ;   in Loop: Header=BB55_8 Depth=1
	s_movk_i32 s2, 0x540
.LBB55_38:                              ;   Parent Loop BB55_8 Depth=1
                                        ; =>  This Inner Loop Header: Depth=2
	s_add_i32 s3, s2, 0
	scratch_load_dwordx4 v[4:7], off, s3 offset:48
	scratch_load_dwordx4 v[8:11], off, s3 offset:32
	scratch_load_dwordx4 v[12:15], off, s3
	scratch_load_dwordx4 v[16:19], off, s3 offset:16
	s_add_i32 s2, s2, 64
	s_cmpk_lg_i32 s2, 0x700
	s_waitcnt vmcnt(2)
	;;#ASMSTART
	v_add_f32 v8, v9, v8 row_shl:1 bound_ctrl:0 
	;;#ASMEND
	s_nop 0
	;;#ASMSTART
	v_add_f32 v8, v10, v8 row_shl:2 bound_ctrl:0 
	;;#ASMEND
	s_waitcnt vmcnt(1)
	;;#ASMSTART
	v_add_f32 v12, v13, v12 row_shl:1 bound_ctrl:0 
	;;#ASMEND
	;;#ASMSTART
	v_add_f32 v8, v11, v8 row_shl:3 bound_ctrl:0 
	;;#ASMEND
	s_nop 0
	;;#ASMSTART
	v_add_f32 v12, v14, v12 row_shl:2 bound_ctrl:0 
	;;#ASMEND
	;;#ASMSTART
	v_add_f32 v8, v4, v8 row_shl:8 bound_ctrl:0 
	;;#ASMEND
	s_nop 0
	;;#ASMSTART
	v_add_f32 v12, v15, v12 row_shl:3 bound_ctrl:0 
	;;#ASMEND
	;;#ASMSTART
	v_add_f32 v8, v5, v8 row_shl:9 bound_ctrl:0 
	;;#ASMEND
	s_waitcnt vmcnt(0)
	;;#ASMSTART
	v_add_f32 v12, v16, v12 row_shl:8 bound_ctrl:0 
	;;#ASMEND
	;;#ASMSTART
	v_add_f32 v8, v6, v8 row_shl:10 bound_ctrl:0 
	;;#ASMEND
	s_nop 0
	;;#ASMSTART
	v_add_f32 v12, v17, v12 row_shl:9 bound_ctrl:0 
	;;#ASMEND
	;;#ASMSTART
	v_add_f32 v8, v7, v8 row_shl:11 bound_ctrl:0 
	;;#ASMEND
	ds_bpermute_b32 v3, v1, v8
	;;#ASMSTART
	v_add_f32 v12, v18, v12 row_shl:10 bound_ctrl:0 
	;;#ASMEND
	s_waitcnt lgkmcnt(0)
	v_add_f32_e32 v3, v8, v3
	;;#ASMSTART
	v_add_f32 v12, v19, v12 row_shl:11 bound_ctrl:0 
	;;#ASMEND
	ds_bpermute_b32 v4, v0, v12
	ds_bpermute_b32 v3, v2, v3
	s_waitcnt lgkmcnt(1)
	v_add_f32_e32 v4, v12, v4
	s_waitcnt lgkmcnt(0)
	v_add_f32_e32 v3, v4, v3
	scratch_store_dword off, v3, s3
	s_cbranch_scc1 .LBB55_38
; %bb.39:                               ;   in Loop: Header=BB55_8 Depth=1
	s_mov_b64 s[6:7], exec
	scratch_load_dwordx2 v[8:9], off, off offset:3840 ; 8-byte Folded Reload
	s_and_b64 s[2:3], s[6:7], s[0:1]
	s_mov_b64 exec, s[2:3]
	s_cbranch_execz .LBB55_7
; %bb.40:                               ;   in Loop: Header=BB55_8 Depth=1
	scratch_load_dwordx4 v[0:3], off, off
                                        ; implicit-def: $vgpr2
	s_waitcnt vmcnt(0)
	v_mul_f32_e32 v0, s23, v0
	v_mul_f32_e32 v0, s33, v0
	v_and_b32_e32 v1, 0x7f800000, v0
	v_cmp_ne_u32_e32 vcc, s42, v1
	s_and_saveexec_b64 s[2:3], vcc
	s_xor_b64 s[2:3], exec, s[2:3]
; %bb.41:                               ;   in Loop: Header=BB55_8 Depth=1
	v_bfe_u32 v1, v0, 16, 1
	v_add3_u32 v2, v0, v1, s43
                                        ; implicit-def: $vgpr0
; %bb.42:                               ;   in Loop: Header=BB55_8 Depth=1
	s_andn2_saveexec_b64 s[2:3], s[2:3]
	s_cbranch_execz .LBB55_44
; %bb.43:                               ;   in Loop: Header=BB55_8 Depth=1
	scratch_load_dwordx2 v[2:3], off, off offset:1904 ; 8-byte Folded Reload
	v_or_b32_e32 v1, 0x10000, v0
	s_waitcnt vmcnt(0)
	v_cmp_eq_u32_sdwa vcc, v0, v3 src0_sel:WORD_0 src1_sel:DWORD
	s_nop 1
	v_cndmask_b32_e32 v2, v1, v0, vcc
.LBB55_44:                              ;   in Loop: Header=BB55_8 Depth=1
	s_or_b64 exec, exec, s[2:3]
	scratch_load_dwordx2 v[0:1], off, off offset:1904 ; 8-byte Folded Reload
	s_waitcnt vmcnt(0)
	v_mov_b32_e32 v9, v1
	v_lshl_add_u64 v[0:1], v[8:9], 1, s[28:29]
	global_store_short_d16_hi v[0:1], v2, off
	v_add_u32_e32 v2, 1, v8
	v_cmp_gt_u32_e32 vcc, s22, v2
	s_and_saveexec_b64 s[8:9], vcc
	s_cbranch_execz .LBB55_75
; %bb.45:                               ;   in Loop: Header=BB55_8 Depth=1
	scratch_load_dwordx4 v[4:7], off, off offset:64
	s_waitcnt vmcnt(0)
	v_mul_f32_e32 v3, s23, v4
	v_mul_f32_e32 v3, s33, v3
	v_and_b32_e32 v4, 0x7f800000, v3
	v_cmp_ne_u32_e64 s[2:3], s42, v4
                                        ; implicit-def: $vgpr4
	s_and_saveexec_b64 s[10:11], s[2:3]
	s_xor_b64 s[2:3], exec, s[10:11]
; %bb.46:                               ;   in Loop: Header=BB55_8 Depth=1
	v_bfe_u32 v4, v3, 16, 1
	v_add3_u32 v4, v3, v4, s43
                                        ; implicit-def: $vgpr3
; %bb.47:                               ;   in Loop: Header=BB55_8 Depth=1
	s_andn2_saveexec_b64 s[10:11], s[2:3]
	s_cbranch_execz .LBB55_49
; %bb.48:                               ;   in Loop: Header=BB55_8 Depth=1
	scratch_load_dwordx2 v[6:7], off, off offset:1904 ; 8-byte Folded Reload
	v_or_b32_e32 v4, 0x10000, v3
	s_waitcnt vmcnt(0)
	v_cmp_eq_u32_sdwa s[2:3], v3, v7 src0_sel:WORD_0 src1_sel:DWORD
	s_nop 1
	v_cndmask_b32_e64 v4, v4, v3, s[2:3]
.LBB55_49:                              ;   in Loop: Header=BB55_8 Depth=1
	s_or_b64 exec, exec, s[10:11]
	v_add_u32_e32 v3, 2, v8
	v_cmp_gt_u32_e64 s[2:3], s22, v3
	global_store_short_d16_hi v[0:1], v4, off offset:2
	s_and_b64 exec, exec, s[2:3]
	s_cbranch_execz .LBB55_75
; %bb.50:                               ;   in Loop: Header=BB55_8 Depth=1
	scratch_load_dwordx4 v[4:7], off, off offset:128
	s_waitcnt vmcnt(0)
	v_mul_f32_e32 v3, s23, v4
	v_mul_f32_e32 v3, s33, v3
	v_and_b32_e32 v4, 0x7f800000, v3
	v_cmp_ne_u32_e64 s[2:3], s42, v4
                                        ; implicit-def: $vgpr4
	s_and_saveexec_b64 s[10:11], s[2:3]
	s_xor_b64 s[2:3], exec, s[10:11]
; %bb.51:                               ;   in Loop: Header=BB55_8 Depth=1
	v_bfe_u32 v4, v3, 16, 1
	v_add3_u32 v4, v3, v4, s43
                                        ; implicit-def: $vgpr3
; %bb.52:                               ;   in Loop: Header=BB55_8 Depth=1
	s_andn2_saveexec_b64 s[10:11], s[2:3]
	s_cbranch_execz .LBB55_54
; %bb.53:                               ;   in Loop: Header=BB55_8 Depth=1
	scratch_load_dwordx2 v[6:7], off, off offset:1904 ; 8-byte Folded Reload
	v_or_b32_e32 v4, 0x10000, v3
	s_waitcnt vmcnt(0)
	v_cmp_eq_u32_sdwa s[2:3], v3, v7 src0_sel:WORD_0 src1_sel:DWORD
	s_nop 1
	v_cndmask_b32_e64 v4, v4, v3, s[2:3]
.LBB55_54:                              ;   in Loop: Header=BB55_8 Depth=1
	s_or_b64 exec, exec, s[10:11]
	v_add_u32_e32 v3, 3, v8
	v_cmp_gt_u32_e64 s[2:3], s22, v3
	global_store_short_d16_hi v[0:1], v4, off offset:4
	s_and_b64 exec, exec, s[2:3]
	;; [unrolled: 31-line block ×5, first 2 shown]
	s_cbranch_execz .LBB55_75
; %bb.70:                               ;   in Loop: Header=BB55_8 Depth=1
	scratch_load_dwordx4 v[4:7], off, off offset:384
	s_waitcnt vmcnt(0)
	v_mul_f32_e32 v3, s23, v4
	v_mul_f32_e32 v3, s33, v3
	v_and_b32_e32 v4, 0x7f800000, v3
	v_cmp_ne_u32_e64 s[2:3], s42, v4
                                        ; implicit-def: $vgpr4
	s_and_saveexec_b64 s[10:11], s[2:3]
	s_xor_b64 s[2:3], exec, s[10:11]
; %bb.71:                               ;   in Loop: Header=BB55_8 Depth=1
	v_bfe_u32 v4, v3, 16, 1
	v_add3_u32 v4, v3, v4, s43
                                        ; implicit-def: $vgpr3
; %bb.72:                               ;   in Loop: Header=BB55_8 Depth=1
	s_andn2_saveexec_b64 s[10:11], s[2:3]
	s_cbranch_execz .LBB55_74
; %bb.73:                               ;   in Loop: Header=BB55_8 Depth=1
	scratch_load_dwordx2 v[6:7], off, off offset:1904 ; 8-byte Folded Reload
	v_or_b32_e32 v4, 0x10000, v3
	s_waitcnt vmcnt(0)
	v_cmp_eq_u32_sdwa s[2:3], v3, v7 src0_sel:WORD_0 src1_sel:DWORD
	s_nop 1
	v_cndmask_b32_e64 v4, v4, v3, s[2:3]
.LBB55_74:                              ;   in Loop: Header=BB55_8 Depth=1
	s_or_b64 exec, exec, s[10:11]
	global_store_short_d16_hi v[0:1], v4, off offset:12
.LBB55_75:                              ;   in Loop: Header=BB55_8 Depth=1
	s_or_b64 exec, exec, s[8:9]
	scratch_load_dwordx4 v[4:7], off, off offset:448
	s_waitcnt vmcnt(0)
	v_mul_f32_e32 v0, s23, v4
	v_mul_f32_e32 v1, s33, v0
	v_and_b32_e32 v0, 0x7f800000, v1
	v_cmp_ne_u32_e64 s[2:3], s42, v0
                                        ; implicit-def: $vgpr0
	s_and_saveexec_b64 s[8:9], s[2:3]
	s_xor_b64 s[2:3], exec, s[8:9]
; %bb.76:                               ;   in Loop: Header=BB55_8 Depth=1
	v_bfe_u32 v0, v1, 16, 1
	v_add3_u32 v0, v1, v0, s43
                                        ; implicit-def: $vgpr1
; %bb.77:                               ;   in Loop: Header=BB55_8 Depth=1
	s_andn2_saveexec_b64 s[8:9], s[2:3]
	s_cbranch_execz .LBB55_79
; %bb.78:                               ;   in Loop: Header=BB55_8 Depth=1
	scratch_load_dwordx2 v[4:5], off, off offset:1904 ; 8-byte Folded Reload
	v_or_b32_e32 v0, 0x10000, v1
	s_waitcnt vmcnt(0)
	v_cmp_eq_u32_sdwa s[2:3], v1, v5 src0_sel:WORD_0 src1_sel:DWORD
	s_nop 1
	v_cndmask_b32_e64 v0, v0, v1, s[2:3]
.LBB55_79:                              ;   in Loop: Header=BB55_8 Depth=1
	s_or_b64 exec, exec, s[8:9]
	scratch_load_dwordx2 v[4:5], off, off offset:1904 ; 8-byte Folded Reload
	s_waitcnt vmcnt(0)
	v_add_u32_e32 v4, s22, v8
	v_mov_b32_e32 v9, v5
	v_lshl_add_u64 v[4:5], v[4:5], 1, s[28:29]
	global_store_short_d16_hi v[4:5], v0, off
	s_and_saveexec_b64 s[8:9], vcc
	s_cbranch_execz .LBB55_110
; %bb.80:                               ;   in Loop: Header=BB55_8 Depth=1
	scratch_load_dwordx4 v[4:7], off, off offset:512
	s_waitcnt vmcnt(0)
	v_mul_f32_e32 v0, s23, v4
	v_mul_f32_e32 v1, s33, v0
	v_and_b32_e32 v0, 0x7f800000, v1
	v_cmp_ne_u32_e64 s[2:3], s42, v0
                                        ; implicit-def: $vgpr0
	s_and_saveexec_b64 s[10:11], s[2:3]
	s_xor_b64 s[2:3], exec, s[10:11]
; %bb.81:                               ;   in Loop: Header=BB55_8 Depth=1
	v_bfe_u32 v0, v1, 16, 1
	v_add3_u32 v0, v1, v0, s43
                                        ; implicit-def: $vgpr1
; %bb.82:                               ;   in Loop: Header=BB55_8 Depth=1
	s_andn2_saveexec_b64 s[10:11], s[2:3]
; %bb.83:                               ;   in Loop: Header=BB55_8 Depth=1
	v_or_b32_e32 v0, 0x10000, v1
	v_cmp_eq_u32_sdwa s[2:3], v1, v9 src0_sel:WORD_0 src1_sel:DWORD
	s_nop 1
	v_cndmask_b32_e64 v0, v0, v1, s[2:3]
; %bb.84:                               ;   in Loop: Header=BB55_8 Depth=1
	s_or_b64 exec, exec, s[10:11]
	v_mov_b32_e32 v5, v9
	v_add_u32_e32 v4, s22, v2
	v_lshl_add_u64 v[4:5], v[4:5], 1, s[28:29]
	global_store_short_d16_hi v[4:5], v0, off
	v_add_u32_e32 v0, 2, v8
	v_cmp_gt_u32_e64 s[2:3], s22, v0
	s_and_b64 exec, exec, s[2:3]
	s_cbranch_execz .LBB55_110
; %bb.85:                               ;   in Loop: Header=BB55_8 Depth=1
	scratch_load_dwordx4 v[4:7], off, off offset:576
	s_waitcnt vmcnt(0)
	v_mul_f32_e32 v1, s23, v4
	v_mul_f32_e32 v3, s33, v1
	v_and_b32_e32 v1, 0x7f800000, v3
	v_cmp_ne_u32_e64 s[2:3], s42, v1
                                        ; implicit-def: $vgpr1
	s_and_saveexec_b64 s[10:11], s[2:3]
	s_xor_b64 s[2:3], exec, s[10:11]
; %bb.86:                               ;   in Loop: Header=BB55_8 Depth=1
	v_bfe_u32 v1, v3, 16, 1
	v_add3_u32 v1, v3, v1, s43
                                        ; implicit-def: $vgpr3
; %bb.87:                               ;   in Loop: Header=BB55_8 Depth=1
	s_andn2_saveexec_b64 s[10:11], s[2:3]
; %bb.88:                               ;   in Loop: Header=BB55_8 Depth=1
	v_or_b32_e32 v1, 0x10000, v3
	v_cmp_eq_u32_sdwa s[2:3], v3, v9 src0_sel:WORD_0 src1_sel:DWORD
	s_nop 1
	v_cndmask_b32_e64 v1, v1, v3, s[2:3]
; %bb.89:                               ;   in Loop: Header=BB55_8 Depth=1
	s_or_b64 exec, exec, s[10:11]
	v_mov_b32_e32 v5, v9
	v_add_u32_e32 v4, s22, v0
	v_add_u32_e32 v0, 3, v8
	v_lshl_add_u64 v[4:5], v[4:5], 1, s[28:29]
	v_cmp_gt_u32_e64 s[2:3], s22, v0
	global_store_short_d16_hi v[4:5], v1, off
	s_and_b64 exec, exec, s[2:3]
	s_cbranch_execz .LBB55_110
; %bb.90:                               ;   in Loop: Header=BB55_8 Depth=1
	scratch_load_dwordx4 v[4:7], off, off offset:640
	s_waitcnt vmcnt(0)
	v_mul_f32_e32 v1, s23, v4
	v_mul_f32_e32 v3, s33, v1
	v_and_b32_e32 v1, 0x7f800000, v3
	v_cmp_ne_u32_e64 s[2:3], s42, v1
                                        ; implicit-def: $vgpr1
	s_and_saveexec_b64 s[10:11], s[2:3]
	s_xor_b64 s[2:3], exec, s[10:11]
; %bb.91:                               ;   in Loop: Header=BB55_8 Depth=1
	v_bfe_u32 v1, v3, 16, 1
	v_add3_u32 v1, v3, v1, s43
                                        ; implicit-def: $vgpr3
; %bb.92:                               ;   in Loop: Header=BB55_8 Depth=1
	s_andn2_saveexec_b64 s[10:11], s[2:3]
; %bb.93:                               ;   in Loop: Header=BB55_8 Depth=1
	v_or_b32_e32 v1, 0x10000, v3
	v_cmp_eq_u32_sdwa s[2:3], v3, v9 src0_sel:WORD_0 src1_sel:DWORD
	s_nop 1
	v_cndmask_b32_e64 v1, v1, v3, s[2:3]
; %bb.94:                               ;   in Loop: Header=BB55_8 Depth=1
	s_or_b64 exec, exec, s[10:11]
	v_mov_b32_e32 v5, v9
	v_add_u32_e32 v4, s22, v0
	v_add_u32_e32 v0, 4, v8
	v_lshl_add_u64 v[4:5], v[4:5], 1, s[28:29]
	v_cmp_gt_u32_e64 s[2:3], s22, v0
	global_store_short_d16_hi v[4:5], v1, off
	;; [unrolled: 31-line block ×3, first 2 shown]
	s_and_b64 exec, exec, s[2:3]
	s_cbranch_execz .LBB55_110
; %bb.100:                              ;   in Loop: Header=BB55_8 Depth=1
	scratch_load_dwordx4 v[4:7], off, off offset:768
	s_waitcnt vmcnt(0)
	v_mul_f32_e32 v1, s23, v4
	v_mul_f32_e32 v3, s33, v1
	v_and_b32_e32 v1, 0x7f800000, v3
	v_cmp_ne_u32_e64 s[2:3], s42, v1
                                        ; implicit-def: $vgpr1
	s_and_saveexec_b64 s[10:11], s[2:3]
	s_xor_b64 s[2:3], exec, s[10:11]
; %bb.101:                              ;   in Loop: Header=BB55_8 Depth=1
	v_bfe_u32 v1, v3, 16, 1
	v_add3_u32 v1, v3, v1, s43
                                        ; implicit-def: $vgpr3
; %bb.102:                              ;   in Loop: Header=BB55_8 Depth=1
	s_andn2_saveexec_b64 s[10:11], s[2:3]
; %bb.103:                              ;   in Loop: Header=BB55_8 Depth=1
	v_or_b32_e32 v1, 0x10000, v3
	v_cmp_eq_u32_sdwa s[2:3], v3, v9 src0_sel:WORD_0 src1_sel:DWORD
	s_nop 1
	v_cndmask_b32_e64 v1, v1, v3, s[2:3]
; %bb.104:                              ;   in Loop: Header=BB55_8 Depth=1
	s_or_b64 exec, exec, s[10:11]
	v_mov_b32_e32 v5, v9
	v_add_u32_e32 v4, s22, v0
	v_add_u32_e32 v0, 6, v8
	v_lshl_add_u64 v[4:5], v[4:5], 1, s[28:29]
	v_cmp_gt_u32_e64 s[2:3], s22, v0
	global_store_short_d16_hi v[4:5], v1, off
	s_and_b64 exec, exec, s[2:3]
	s_cbranch_execz .LBB55_110
; %bb.105:                              ;   in Loop: Header=BB55_8 Depth=1
	scratch_load_dwordx4 v[4:7], off, off offset:832
	s_waitcnt vmcnt(0)
	v_mul_f32_e32 v1, s23, v4
	v_mul_f32_e32 v3, s33, v1
	v_and_b32_e32 v1, 0x7f800000, v3
	v_cmp_ne_u32_e64 s[2:3], s42, v1
                                        ; implicit-def: $vgpr1
	s_and_saveexec_b64 s[10:11], s[2:3]
	s_xor_b64 s[2:3], exec, s[10:11]
; %bb.106:                              ;   in Loop: Header=BB55_8 Depth=1
	v_bfe_u32 v1, v3, 16, 1
	v_add3_u32 v1, v3, v1, s43
                                        ; implicit-def: $vgpr3
; %bb.107:                              ;   in Loop: Header=BB55_8 Depth=1
	s_andn2_saveexec_b64 s[10:11], s[2:3]
; %bb.108:                              ;   in Loop: Header=BB55_8 Depth=1
	v_or_b32_e32 v1, 0x10000, v3
	v_cmp_eq_u32_sdwa s[2:3], v3, v9 src0_sel:WORD_0 src1_sel:DWORD
	s_nop 1
	v_cndmask_b32_e64 v1, v1, v3, s[2:3]
; %bb.109:                              ;   in Loop: Header=BB55_8 Depth=1
	s_or_b64 exec, exec, s[10:11]
	v_mov_b32_e32 v5, v9
	v_add_u32_e32 v4, s22, v0
	v_lshl_add_u64 v[4:5], v[4:5], 1, s[28:29]
	global_store_short_d16_hi v[4:5], v1, off
.LBB55_110:                             ;   in Loop: Header=BB55_8 Depth=1
	s_or_b64 exec, exec, s[8:9]
	scratch_load_dwordx4 v[4:7], off, off offset:896
	s_waitcnt vmcnt(0)
	v_mul_f32_e32 v0, s23, v4
	v_mul_f32_e32 v1, s33, v0
	v_and_b32_e32 v0, 0x7f800000, v1
	v_cmp_ne_u32_e64 s[2:3], s42, v0
                                        ; implicit-def: $vgpr0
	s_and_saveexec_b64 s[8:9], s[2:3]
	s_xor_b64 s[2:3], exec, s[8:9]
; %bb.111:                              ;   in Loop: Header=BB55_8 Depth=1
	v_bfe_u32 v0, v1, 16, 1
	v_add3_u32 v0, v1, v0, s43
                                        ; implicit-def: $vgpr1
; %bb.112:                              ;   in Loop: Header=BB55_8 Depth=1
	s_andn2_saveexec_b64 s[8:9], s[2:3]
; %bb.113:                              ;   in Loop: Header=BB55_8 Depth=1
	v_or_b32_e32 v0, 0x10000, v1
	v_cmp_eq_u32_sdwa s[2:3], v1, v9 src0_sel:WORD_0 src1_sel:DWORD
	s_nop 1
	v_cndmask_b32_e64 v0, v0, v1, s[2:3]
; %bb.114:                              ;   in Loop: Header=BB55_8 Depth=1
	s_or_b64 exec, exec, s[8:9]
	v_mov_b32_e32 v5, v9
	v_add_u32_e32 v4, s39, v8
	v_lshl_add_u64 v[4:5], v[4:5], 1, s[28:29]
	global_store_short_d16_hi v[4:5], v0, off
	s_and_saveexec_b64 s[8:9], vcc
	s_cbranch_execz .LBB55_145
; %bb.115:                              ;   in Loop: Header=BB55_8 Depth=1
	scratch_load_dwordx4 v[4:7], off, off offset:960
	s_waitcnt vmcnt(0)
	v_mul_f32_e32 v0, s23, v4
	v_mul_f32_e32 v1, s33, v0
	v_and_b32_e32 v0, 0x7f800000, v1
	v_cmp_ne_u32_e64 s[2:3], s42, v0
                                        ; implicit-def: $vgpr0
	s_and_saveexec_b64 s[10:11], s[2:3]
	s_xor_b64 s[2:3], exec, s[10:11]
; %bb.116:                              ;   in Loop: Header=BB55_8 Depth=1
	v_bfe_u32 v0, v1, 16, 1
	v_add3_u32 v0, v1, v0, s43
                                        ; implicit-def: $vgpr1
; %bb.117:                              ;   in Loop: Header=BB55_8 Depth=1
	s_andn2_saveexec_b64 s[10:11], s[2:3]
; %bb.118:                              ;   in Loop: Header=BB55_8 Depth=1
	v_or_b32_e32 v0, 0x10000, v1
	v_cmp_eq_u32_sdwa s[2:3], v1, v9 src0_sel:WORD_0 src1_sel:DWORD
	s_nop 1
	v_cndmask_b32_e64 v0, v0, v1, s[2:3]
; %bb.119:                              ;   in Loop: Header=BB55_8 Depth=1
	s_or_b64 exec, exec, s[10:11]
	v_mov_b32_e32 v5, v9
	v_add_u32_e32 v4, s39, v2
	v_lshl_add_u64 v[4:5], v[4:5], 1, s[28:29]
	global_store_short_d16_hi v[4:5], v0, off
	v_add_u32_e32 v0, 2, v8
	v_cmp_gt_u32_e64 s[2:3], s22, v0
	s_and_b64 exec, exec, s[2:3]
	s_cbranch_execz .LBB55_145
; %bb.120:                              ;   in Loop: Header=BB55_8 Depth=1
	scratch_load_dwordx4 v[4:7], off, off offset:1024
	s_waitcnt vmcnt(0)
	v_mul_f32_e32 v1, s23, v4
	v_mul_f32_e32 v3, s33, v1
	v_and_b32_e32 v1, 0x7f800000, v3
	v_cmp_ne_u32_e64 s[2:3], s42, v1
                                        ; implicit-def: $vgpr1
	s_and_saveexec_b64 s[10:11], s[2:3]
	s_xor_b64 s[2:3], exec, s[10:11]
; %bb.121:                              ;   in Loop: Header=BB55_8 Depth=1
	v_bfe_u32 v1, v3, 16, 1
	v_add3_u32 v1, v3, v1, s43
                                        ; implicit-def: $vgpr3
; %bb.122:                              ;   in Loop: Header=BB55_8 Depth=1
	s_andn2_saveexec_b64 s[10:11], s[2:3]
; %bb.123:                              ;   in Loop: Header=BB55_8 Depth=1
	v_or_b32_e32 v1, 0x10000, v3
	v_cmp_eq_u32_sdwa s[2:3], v3, v9 src0_sel:WORD_0 src1_sel:DWORD
	s_nop 1
	v_cndmask_b32_e64 v1, v1, v3, s[2:3]
; %bb.124:                              ;   in Loop: Header=BB55_8 Depth=1
	s_or_b64 exec, exec, s[10:11]
	v_mov_b32_e32 v5, v9
	v_add_u32_e32 v4, s39, v0
	v_add_u32_e32 v0, 3, v8
	v_lshl_add_u64 v[4:5], v[4:5], 1, s[28:29]
	v_cmp_gt_u32_e64 s[2:3], s22, v0
	global_store_short_d16_hi v[4:5], v1, off
	s_and_b64 exec, exec, s[2:3]
	s_cbranch_execz .LBB55_145
; %bb.125:                              ;   in Loop: Header=BB55_8 Depth=1
	scratch_load_dwordx4 v[4:7], off, off offset:1088
	s_waitcnt vmcnt(0)
	v_mul_f32_e32 v1, s23, v4
	v_mul_f32_e32 v3, s33, v1
	v_and_b32_e32 v1, 0x7f800000, v3
	v_cmp_ne_u32_e64 s[2:3], s42, v1
                                        ; implicit-def: $vgpr1
	s_and_saveexec_b64 s[10:11], s[2:3]
	s_xor_b64 s[2:3], exec, s[10:11]
; %bb.126:                              ;   in Loop: Header=BB55_8 Depth=1
	v_bfe_u32 v1, v3, 16, 1
	v_add3_u32 v1, v3, v1, s43
                                        ; implicit-def: $vgpr3
; %bb.127:                              ;   in Loop: Header=BB55_8 Depth=1
	s_andn2_saveexec_b64 s[10:11], s[2:3]
; %bb.128:                              ;   in Loop: Header=BB55_8 Depth=1
	v_or_b32_e32 v1, 0x10000, v3
	v_cmp_eq_u32_sdwa s[2:3], v3, v9 src0_sel:WORD_0 src1_sel:DWORD
	s_nop 1
	v_cndmask_b32_e64 v1, v1, v3, s[2:3]
; %bb.129:                              ;   in Loop: Header=BB55_8 Depth=1
	s_or_b64 exec, exec, s[10:11]
	v_mov_b32_e32 v5, v9
	v_add_u32_e32 v4, s39, v0
	v_add_u32_e32 v0, 4, v8
	v_lshl_add_u64 v[4:5], v[4:5], 1, s[28:29]
	v_cmp_gt_u32_e64 s[2:3], s22, v0
	global_store_short_d16_hi v[4:5], v1, off
	;; [unrolled: 31-line block ×4, first 2 shown]
	s_and_b64 exec, exec, s[2:3]
	s_cbranch_execz .LBB55_145
; %bb.140:                              ;   in Loop: Header=BB55_8 Depth=1
	scratch_load_dwordx4 v[4:7], off, off offset:1280
	s_waitcnt vmcnt(0)
	v_mul_f32_e32 v1, s23, v4
	v_mul_f32_e32 v3, s33, v1
	v_and_b32_e32 v1, 0x7f800000, v3
	v_cmp_ne_u32_e64 s[2:3], s42, v1
                                        ; implicit-def: $vgpr1
	s_and_saveexec_b64 s[10:11], s[2:3]
	s_xor_b64 s[2:3], exec, s[10:11]
; %bb.141:                              ;   in Loop: Header=BB55_8 Depth=1
	v_bfe_u32 v1, v3, 16, 1
	v_add3_u32 v1, v3, v1, s43
                                        ; implicit-def: $vgpr3
; %bb.142:                              ;   in Loop: Header=BB55_8 Depth=1
	s_andn2_saveexec_b64 s[10:11], s[2:3]
; %bb.143:                              ;   in Loop: Header=BB55_8 Depth=1
	v_or_b32_e32 v1, 0x10000, v3
	v_cmp_eq_u32_sdwa s[2:3], v3, v9 src0_sel:WORD_0 src1_sel:DWORD
	s_nop 1
	v_cndmask_b32_e64 v1, v1, v3, s[2:3]
; %bb.144:                              ;   in Loop: Header=BB55_8 Depth=1
	s_or_b64 exec, exec, s[10:11]
	v_mov_b32_e32 v5, v9
	v_add_u32_e32 v4, s39, v0
	v_lshl_add_u64 v[4:5], v[4:5], 1, s[28:29]
	global_store_short_d16_hi v[4:5], v1, off
.LBB55_145:                             ;   in Loop: Header=BB55_8 Depth=1
	s_or_b64 exec, exec, s[8:9]
	scratch_load_dwordx4 v[4:7], off, off offset:1344
	s_waitcnt vmcnt(0)
	v_mul_f32_e32 v0, s23, v4
	v_mul_f32_e32 v1, s33, v0
	v_and_b32_e32 v0, 0x7f800000, v1
	v_cmp_ne_u32_e64 s[2:3], s42, v0
                                        ; implicit-def: $vgpr0
	s_and_saveexec_b64 s[8:9], s[2:3]
	s_xor_b64 s[2:3], exec, s[8:9]
; %bb.146:                              ;   in Loop: Header=BB55_8 Depth=1
	v_bfe_u32 v0, v1, 16, 1
	v_add3_u32 v0, v1, v0, s43
                                        ; implicit-def: $vgpr1
; %bb.147:                              ;   in Loop: Header=BB55_8 Depth=1
	s_andn2_saveexec_b64 s[8:9], s[2:3]
; %bb.148:                              ;   in Loop: Header=BB55_8 Depth=1
	v_or_b32_e32 v0, 0x10000, v1
	v_cmp_eq_u32_sdwa s[2:3], v1, v9 src0_sel:WORD_0 src1_sel:DWORD
	s_nop 1
	v_cndmask_b32_e64 v0, v0, v1, s[2:3]
; %bb.149:                              ;   in Loop: Header=BB55_8 Depth=1
	s_or_b64 exec, exec, s[8:9]
	v_mov_b32_e32 v5, v9
	v_add_u32_e32 v4, s40, v8
	v_mov_b32_e32 v1, v9
	v_lshl_add_u64 v[4:5], v[4:5], 1, s[28:29]
	scratch_store_dwordx2 off, v[0:1], off offset:1904 ; 8-byte Folded Spill
	global_store_short_d16_hi v[4:5], v0, off
	s_and_b64 exec, exec, vcc
	s_cbranch_execz .LBB55_7
; %bb.150:                              ;   in Loop: Header=BB55_8 Depth=1
	scratch_load_dwordx4 v[4:7], off, off offset:1408
	s_waitcnt vmcnt(0)
	v_mul_f32_e32 v0, s23, v4
	v_mul_f32_e32 v1, s33, v0
	v_and_b32_e32 v0, 0x7f800000, v1
	v_cmp_ne_u32_e32 vcc, s42, v0
                                        ; implicit-def: $vgpr0
	s_and_saveexec_b64 s[2:3], vcc
	s_xor_b64 s[2:3], exec, s[2:3]
; %bb.151:                              ;   in Loop: Header=BB55_8 Depth=1
	v_bfe_u32 v0, v1, 16, 1
	v_add3_u32 v0, v1, v0, s43
                                        ; implicit-def: $vgpr1
; %bb.152:                              ;   in Loop: Header=BB55_8 Depth=1
	s_andn2_saveexec_b64 s[2:3], s[2:3]
	s_cbranch_execz .LBB55_154
; %bb.153:                              ;   in Loop: Header=BB55_8 Depth=1
	scratch_load_dwordx2 v[4:5], off, off offset:1904 ; 8-byte Folded Reload
	v_or_b32_e32 v0, 0x10000, v1
	s_waitcnt vmcnt(0)
	v_cmp_eq_u32_sdwa vcc, v1, v5 src0_sel:WORD_0 src1_sel:DWORD
	s_nop 1
	v_cndmask_b32_e32 v0, v0, v1, vcc
.LBB55_154:                             ;   in Loop: Header=BB55_8 Depth=1
	s_or_b64 exec, exec, s[2:3]
	scratch_load_dwordx2 v[4:5], off, off offset:1904 ; 8-byte Folded Reload
	v_add_u32_e32 v2, s40, v2
	s_waitcnt vmcnt(0)
	v_mov_b32_e32 v3, v5
	v_mov_b32_e32 v1, v5
	v_lshl_add_u64 v[2:3], v[2:3], 1, s[28:29]
	scratch_store_dwordx2 off, v[0:1], off offset:1904 ; 8-byte Folded Spill
	global_store_short_d16_hi v[2:3], v0, off
	v_add_u32_e32 v0, 2, v8
	v_cmp_gt_u32_e32 vcc, s22, v0
	s_and_b64 exec, exec, vcc
	s_cbranch_execz .LBB55_7
; %bb.155:                              ;   in Loop: Header=BB55_8 Depth=1
	scratch_load_dwordx4 v[2:5], off, off offset:1472
	s_waitcnt vmcnt(0)
	v_mul_f32_e32 v1, s23, v2
	v_mul_f32_e32 v2, s33, v1
	v_and_b32_e32 v1, 0x7f800000, v2
	v_cmp_ne_u32_e32 vcc, s42, v1
                                        ; implicit-def: $vgpr1
	s_and_saveexec_b64 s[2:3], vcc
	s_xor_b64 s[2:3], exec, s[2:3]
; %bb.156:                              ;   in Loop: Header=BB55_8 Depth=1
	v_bfe_u32 v1, v2, 16, 1
	v_add3_u32 v1, v2, v1, s43
                                        ; implicit-def: $vgpr2
; %bb.157:                              ;   in Loop: Header=BB55_8 Depth=1
	s_andn2_saveexec_b64 s[2:3], s[2:3]
	s_cbranch_execz .LBB55_159
; %bb.158:                              ;   in Loop: Header=BB55_8 Depth=1
	scratch_load_dwordx2 v[4:5], off, off offset:1904 ; 8-byte Folded Reload
	v_or_b32_e32 v1, 0x10000, v2
	s_waitcnt vmcnt(0)
	v_cmp_eq_u32_sdwa vcc, v2, v5 src0_sel:WORD_0 src1_sel:DWORD
	s_nop 1
	v_cndmask_b32_e32 v1, v1, v2, vcc
.LBB55_159:                             ;   in Loop: Header=BB55_8 Depth=1
	s_or_b64 exec, exec, s[2:3]
	scratch_load_dwordx2 v[2:3], off, off offset:1904 ; 8-byte Folded Reload
	v_add_u32_e32 v4, s40, v0
	v_add_u32_e32 v0, 3, v8
	v_cmp_gt_u32_e32 vcc, s22, v0
	s_waitcnt vmcnt(0)
	v_mov_b32_e32 v5, v3
	scratch_store_dwordx2 off, v[2:3], off offset:1904 ; 8-byte Folded Spill
	v_lshl_add_u64 v[2:3], v[4:5], 1, s[28:29]
	global_store_short_d16_hi v[2:3], v1, off
	s_and_b64 exec, exec, vcc
	s_cbranch_execz .LBB55_7
; %bb.160:                              ;   in Loop: Header=BB55_8 Depth=1
	scratch_load_dwordx4 v[2:5], off, off offset:1536
	s_waitcnt vmcnt(0)
	v_mul_f32_e32 v1, s23, v2
	v_mul_f32_e32 v2, s33, v1
	v_and_b32_e32 v1, 0x7f800000, v2
	v_cmp_ne_u32_e32 vcc, s42, v1
                                        ; implicit-def: $vgpr1
	s_and_saveexec_b64 s[2:3], vcc
	s_xor_b64 s[2:3], exec, s[2:3]
; %bb.161:                              ;   in Loop: Header=BB55_8 Depth=1
	v_bfe_u32 v1, v2, 16, 1
	v_add3_u32 v1, v2, v1, s43
                                        ; implicit-def: $vgpr2
; %bb.162:                              ;   in Loop: Header=BB55_8 Depth=1
	s_andn2_saveexec_b64 s[2:3], s[2:3]
	s_cbranch_execz .LBB55_164
; %bb.163:                              ;   in Loop: Header=BB55_8 Depth=1
	scratch_load_dwordx2 v[4:5], off, off offset:1904 ; 8-byte Folded Reload
	v_or_b32_e32 v1, 0x10000, v2
	s_waitcnt vmcnt(0)
	v_cmp_eq_u32_sdwa vcc, v2, v5 src0_sel:WORD_0 src1_sel:DWORD
	s_nop 1
	v_cndmask_b32_e32 v1, v1, v2, vcc
.LBB55_164:                             ;   in Loop: Header=BB55_8 Depth=1
	s_or_b64 exec, exec, s[2:3]
	scratch_load_dwordx2 v[2:3], off, off offset:1904 ; 8-byte Folded Reload
	v_add_u32_e32 v4, s40, v0
	v_add_u32_e32 v0, 4, v8
	v_cmp_gt_u32_e32 vcc, s22, v0
	s_waitcnt vmcnt(0)
	v_mov_b32_e32 v5, v3
	scratch_store_dwordx2 off, v[2:3], off offset:1904 ; 8-byte Folded Spill
	v_lshl_add_u64 v[2:3], v[4:5], 1, s[28:29]
	global_store_short_d16_hi v[2:3], v1, off
	;; [unrolled: 37-line block ×4, first 2 shown]
	s_and_b64 exec, exec, vcc
	s_cbranch_execz .LBB55_7
; %bb.175:                              ;   in Loop: Header=BB55_8 Depth=1
	scratch_load_dwordx4 v[2:5], off, off offset:1728
	s_waitcnt vmcnt(0)
	v_mul_f32_e32 v1, s23, v2
	v_mul_f32_e32 v2, s33, v1
	v_and_b32_e32 v1, 0x7f800000, v2
	v_cmp_ne_u32_e32 vcc, s42, v1
                                        ; implicit-def: $vgpr1
	s_and_saveexec_b64 s[2:3], vcc
	s_xor_b64 s[2:3], exec, s[2:3]
; %bb.176:                              ;   in Loop: Header=BB55_8 Depth=1
	v_bfe_u32 v1, v2, 16, 1
	v_add3_u32 v1, v2, v1, s43
                                        ; implicit-def: $vgpr2
; %bb.177:                              ;   in Loop: Header=BB55_8 Depth=1
	s_andn2_saveexec_b64 s[2:3], s[2:3]
	s_cbranch_execz .LBB55_6
; %bb.178:                              ;   in Loop: Header=BB55_8 Depth=1
	scratch_load_dwordx2 v[4:5], off, off offset:1904 ; 8-byte Folded Reload
	v_or_b32_e32 v1, 0x10000, v2
	s_waitcnt vmcnt(0)
	v_cmp_eq_u32_sdwa vcc, v2, v5 src0_sel:WORD_0 src1_sel:DWORD
	s_nop 1
	v_cndmask_b32_e32 v1, v1, v2, vcc
	s_branch .LBB55_6
.LBB55_179:
	s_endpgm
	.section	.rodata,"a",@progbits
	.p2align	6, 0x0
	.amdhsa_kernel _Z13wvSplitKQ_hf_I14__hip_bfloat16N3c1013Float8_e4m3fnELi64ELi7ELi16ELi16ELi1ELi4EEviiiPKT0_S5_PT_PKfS9_ii
		.amdhsa_group_segment_fixed_size 65536
		.amdhsa_private_segment_fixed_size 3904
		.amdhsa_kernarg_size 64
		.amdhsa_user_sgpr_count 2
		.amdhsa_user_sgpr_dispatch_ptr 0
		.amdhsa_user_sgpr_queue_ptr 0
		.amdhsa_user_sgpr_kernarg_segment_ptr 1
		.amdhsa_user_sgpr_dispatch_id 0
		.amdhsa_user_sgpr_kernarg_preload_length 0
		.amdhsa_user_sgpr_kernarg_preload_offset 0
		.amdhsa_user_sgpr_private_segment_size 0
		.amdhsa_uses_dynamic_stack 0
		.amdhsa_enable_private_segment 1
		.amdhsa_system_sgpr_workgroup_id_x 1
		.amdhsa_system_sgpr_workgroup_id_y 0
		.amdhsa_system_sgpr_workgroup_id_z 0
		.amdhsa_system_sgpr_workgroup_info 0
		.amdhsa_system_vgpr_workitem_id 1
		.amdhsa_next_free_vgpr 128
		.amdhsa_next_free_sgpr 45
		.amdhsa_accum_offset 128
		.amdhsa_reserve_vcc 1
		.amdhsa_float_round_mode_32 0
		.amdhsa_float_round_mode_16_64 0
		.amdhsa_float_denorm_mode_32 3
		.amdhsa_float_denorm_mode_16_64 3
		.amdhsa_dx10_clamp 1
		.amdhsa_ieee_mode 1
		.amdhsa_fp16_overflow 0
		.amdhsa_tg_split 0
		.amdhsa_exception_fp_ieee_invalid_op 0
		.amdhsa_exception_fp_denorm_src 0
		.amdhsa_exception_fp_ieee_div_zero 0
		.amdhsa_exception_fp_ieee_overflow 0
		.amdhsa_exception_fp_ieee_underflow 0
		.amdhsa_exception_fp_ieee_inexact 0
		.amdhsa_exception_int_div_zero 0
	.end_amdhsa_kernel
	.section	.text._Z13wvSplitKQ_hf_I14__hip_bfloat16N3c1013Float8_e4m3fnELi64ELi7ELi16ELi16ELi1ELi4EEviiiPKT0_S5_PT_PKfS9_ii,"axG",@progbits,_Z13wvSplitKQ_hf_I14__hip_bfloat16N3c1013Float8_e4m3fnELi64ELi7ELi16ELi16ELi1ELi4EEviiiPKT0_S5_PT_PKfS9_ii,comdat
.Lfunc_end55:
	.size	_Z13wvSplitKQ_hf_I14__hip_bfloat16N3c1013Float8_e4m3fnELi64ELi7ELi16ELi16ELi1ELi4EEviiiPKT0_S5_PT_PKfS9_ii, .Lfunc_end55-_Z13wvSplitKQ_hf_I14__hip_bfloat16N3c1013Float8_e4m3fnELi64ELi7ELi16ELi16ELi1ELi4EEviiiPKT0_S5_PT_PKfS9_ii
                                        ; -- End function
	.section	.AMDGPU.csdata,"",@progbits
; Kernel info:
; codeLenInByte = 13308
; NumSgprs: 51
; NumVgprs: 128
; NumAgprs: 0
; TotalNumVgprs: 128
; ScratchSize: 3904
; MemoryBound: 1
; FloatMode: 240
; IeeeMode: 1
; LDSByteSize: 65536 bytes/workgroup (compile time only)
; SGPRBlocks: 6
; VGPRBlocks: 15
; NumSGPRsForWavesPerEU: 51
; NumVGPRsForWavesPerEU: 128
; AccumOffset: 128
; Occupancy: 4
; WaveLimiterHint : 1
; COMPUTE_PGM_RSRC2:SCRATCH_EN: 1
; COMPUTE_PGM_RSRC2:USER_SGPR: 2
; COMPUTE_PGM_RSRC2:TRAP_HANDLER: 0
; COMPUTE_PGM_RSRC2:TGID_X_EN: 1
; COMPUTE_PGM_RSRC2:TGID_Y_EN: 0
; COMPUTE_PGM_RSRC2:TGID_Z_EN: 0
; COMPUTE_PGM_RSRC2:TIDIG_COMP_CNT: 1
; COMPUTE_PGM_RSRC3_GFX90A:ACCUM_OFFSET: 31
; COMPUTE_PGM_RSRC3_GFX90A:TG_SPLIT: 0
	.section	.text._Z17wvSplitKQ_hf_sml_I14__hip_bfloat16N3c1015Float8_e4m3fnuzELi64ELi2ELi16ELi16ELi2ELi1EEviiiPKT0_S5_PT_PKfS9_ii,"axG",@progbits,_Z17wvSplitKQ_hf_sml_I14__hip_bfloat16N3c1015Float8_e4m3fnuzELi64ELi2ELi16ELi16ELi2ELi1EEviiiPKT0_S5_PT_PKfS9_ii,comdat
	.protected	_Z17wvSplitKQ_hf_sml_I14__hip_bfloat16N3c1015Float8_e4m3fnuzELi64ELi2ELi16ELi16ELi2ELi1EEviiiPKT0_S5_PT_PKfS9_ii ; -- Begin function _Z17wvSplitKQ_hf_sml_I14__hip_bfloat16N3c1015Float8_e4m3fnuzELi64ELi2ELi16ELi16ELi2ELi1EEviiiPKT0_S5_PT_PKfS9_ii
	.globl	_Z17wvSplitKQ_hf_sml_I14__hip_bfloat16N3c1015Float8_e4m3fnuzELi64ELi2ELi16ELi16ELi2ELi1EEviiiPKT0_S5_PT_PKfS9_ii
	.p2align	8
	.type	_Z17wvSplitKQ_hf_sml_I14__hip_bfloat16N3c1015Float8_e4m3fnuzELi64ELi2ELi16ELi16ELi2ELi1EEviiiPKT0_S5_PT_PKfS9_ii,@function
_Z17wvSplitKQ_hf_sml_I14__hip_bfloat16N3c1015Float8_e4m3fnuzELi64ELi2ELi16ELi16ELi2ELi1EEviiiPKT0_S5_PT_PKfS9_ii: ; @_Z17wvSplitKQ_hf_sml_I14__hip_bfloat16N3c1015Float8_e4m3fnuzELi64ELi2ELi16ELi16ELi2ELi1EEviiiPKT0_S5_PT_PKfS9_ii
; %bb.0:
	s_load_dwordx4 s[8:11], s[0:1], 0x0
	s_load_dwordx4 s[4:7], s[0:1], 0x28
	v_bfe_u32 v1, v0, 10, 10
	v_and_b32_e32 v0, 0x3ff, v0
	v_lshlrev_b32_e32 v60, 4, v0
	v_lshl_add_u32 v2, v1, 10, v60
	s_waitcnt lgkmcnt(0)
	s_min_i32 s3, s8, 0x10000
	v_cmp_gt_u32_e32 vcc, s3, v2
	s_and_saveexec_b64 s[12:13], vcc
	s_cbranch_execz .LBB56_3
; %bb.1:
	s_load_dwordx2 s[14:15], s[0:1], 0x18
	s_mov_b64 s[16:17], 0
.LBB56_2:                               ; =>This Inner Loop Header: Depth=1
	s_waitcnt lgkmcnt(0)
	global_load_dwordx4 v[4:7], v2, s[14:15]
	s_waitcnt vmcnt(0)
	ds_write_b128 v2, v[4:7]
	v_add_u32_e32 v2, 0x4000, v2
	v_cmp_le_u32_e32 vcc, s3, v2
	s_or_b64 s[16:17], vcc, s[16:17]
	s_andn2_b64 exec, exec, s[16:17]
	s_cbranch_execnz .LBB56_2
.LBB56_3:
	s_or_b64 exec, exec, s[12:13]
	s_load_dwordx2 s[16:17], s[0:1], 0x38
	s_waitcnt lgkmcnt(0)
	s_barrier
	v_cmp_gt_u32_e32 vcc, s16, v1
	s_and_saveexec_b64 s[12:13], vcc
	s_cbranch_execz .LBB56_30
; %bb.4:
	s_mul_i32 s2, s2, s16
	v_add_lshl_u32 v56, s2, v1, 1
	v_cmp_gt_u32_e32 vcc, s10, v56
	s_and_b64 exec, exec, vcc
	s_cbranch_execz .LBB56_30
; %bb.5:
	s_load_dword s11, s[4:5], 0x0
	s_load_dword s22, s[6:7], 0x0
	s_load_dwordx2 s[12:13], s[0:1], 0x10
	s_load_dwordx2 s[14:15], s[0:1], 0x20
	s_cmp_lg_u32 s8, 0
	s_cselect_b64 s[2:3], -1, 0
	v_cmp_eq_u32_e64 s[0:1], 0, v0
	v_cndmask_b32_e64 v0, 0, 1, s[2:3]
	v_cmp_ne_u32_e64 s[2:3], 1, v0
	v_mbcnt_lo_u32_b32 v0, -1, 0
	v_mbcnt_hi_u32_b32 v0, -1, v0
	s_mul_i32 s4, s16, s17
	v_lshlrev_b32_e32 v0, 2, v0
	s_mov_b32 s7, 0
	s_lshl_b32 s23, s4, 1
	s_mov_b32 s6, s9
	s_mov_b64 s[16:17], 0
	v_mov_b32_e32 v59, 0
	v_and_b32_e32 v61, 0x100, v0
	s_mov_b32 s24, 0x7f800000
	s_movk_i32 s25, 0x7fff
	s_branch .LBB56_8
.LBB56_6:                               ;   in Loop: Header=BB56_8 Depth=1
	s_or_b64 exec, exec, s[18:19]
	global_store_short_d16_hi v[0:1], v3, off offset:2
.LBB56_7:                               ;   in Loop: Header=BB56_8 Depth=1
	s_or_b64 exec, exec, s[4:5]
	v_add_u32_e32 v56, s23, v56
	v_cmp_le_u32_e32 vcc, s10, v56
	s_or_b64 s[16:17], vcc, s[16:17]
	s_andn2_b64 exec, exec, s[16:17]
	s_cbranch_execz .LBB56_30
.LBB56_8:                               ; =>This Loop Header: Depth=1
                                        ;     Child Loop BB56_11 Depth 2
	s_and_b64 vcc, exec, s[2:3]
	v_mov_b32_e32 v31, v59
	v_mov_b32_e32 v30, v59
	;; [unrolled: 1-line block ×13, first 2 shown]
	s_waitcnt lgkmcnt(0)
	v_mov_b32_e32 v18, v59
	v_mov_b32_e32 v17, v59
	;; [unrolled: 1-line block ×19, first 2 shown]
	s_cbranch_vccnz .LBB56_21
; %bb.9:                                ;   in Loop: Header=BB56_8 Depth=1
	v_mov_b32_e32 v0, 0
	v_mul_lo_u32 v57, v56, s9
	s_mov_b32 s26, 0
	v_mov_b32_e32 v1, v0
	v_mov_b32_e32 v2, v0
	;; [unrolled: 1-line block ×31, first 2 shown]
	s_branch .LBB56_11
.LBB56_10:                              ;   in Loop: Header=BB56_11 Depth=2
	s_addk_i32 s26, 0x800
	s_cmp_ge_u32 s26, s8
	s_cbranch_scc1 .LBB56_21
.LBB56_11:                              ;   Parent Loop BB56_8 Depth=1
                                        ; =>  This Inner Loop Header: Depth=2
	v_add_u32_e32 v62, s26, v60
	v_mov_b64_e32 v[32:33], 0
	v_cmp_gt_u32_e32 vcc, s8, v62
	v_add_u32_e32 v63, 0x400, v62
	v_mov_b64_e32 v[40:41], v[32:33]
	v_mov_b64_e32 v[42:43], v[32:33]
	;; [unrolled: 1-line block ×8, first 2 shown]
	s_and_saveexec_b64 s[18:19], vcc
	s_cbranch_execz .LBB56_15
; %bb.12:                               ;   in Loop: Header=BB56_11 Depth=2
	v_add_u32_e32 v58, v62, v57
	s_waitcnt lgkmcnt(0)
	v_lshl_add_u64 v[34:35], s[12:13], 0, v[58:59]
	v_lshl_add_u64 v[34:35], v[34:35], 0, s[6:7]
	global_load_dwordx4 v[48:51], v58, s[12:13] nt
	global_load_dwordx4 v[36:39], v[34:35], off nt
	v_mov_b64_e32 v[46:47], 0
	v_cmp_gt_u32_e64 s[4:5], s8, v63
	v_mov_b64_e32 v[44:45], v[46:47]
	v_mov_b64_e32 v[42:43], v[46:47]
	;; [unrolled: 1-line block ×3, first 2 shown]
	s_and_saveexec_b64 s[20:21], s[4:5]
	s_cbranch_execz .LBB56_14
; %bb.13:                               ;   in Loop: Header=BB56_11 Depth=2
	v_add_u32_e32 v58, v63, v57
	v_lshl_add_u64 v[34:35], s[12:13], 0, v[58:59]
	v_lshl_add_u64 v[34:35], v[34:35], 0, s[6:7]
	global_load_dwordx4 v[44:47], v58, s[12:13] nt
	global_load_dwordx4 v[40:43], v[34:35], off nt
.LBB56_14:                              ;   in Loop: Header=BB56_11 Depth=2
	s_or_b64 exec, exec, s[20:21]
.LBB56_15:                              ;   in Loop: Header=BB56_11 Depth=2
	s_or_b64 exec, exec, s[18:19]
	v_mov_b64_e32 v[34:35], v[32:33]
	v_mov_b64_e32 v[52:53], v[32:33]
	;; [unrolled: 1-line block ×3, first 2 shown]
	s_and_saveexec_b64 s[4:5], vcc
	s_cbranch_execz .LBB56_19
; %bb.16:                               ;   in Loop: Header=BB56_11 Depth=2
	ds_read_b128 v[52:55], v62
	v_mov_b64_e32 v[34:35], 0
	v_cmp_gt_u32_e32 vcc, s8, v63
	v_mov_b64_e32 v[32:33], v[34:35]
	s_and_saveexec_b64 s[18:19], vcc
	s_cbranch_execz .LBB56_18
; %bb.17:                               ;   in Loop: Header=BB56_11 Depth=2
	ds_read_b128 v[32:35], v62 offset:1024
.LBB56_18:                              ;   in Loop: Header=BB56_11 Depth=2
	s_or_b64 exec, exec, s[18:19]
.LBB56_19:                              ;   in Loop: Header=BB56_11 Depth=2
	s_or_b64 exec, exec, s[4:5]
	s_waitcnt vmcnt(1) lgkmcnt(0)
	v_mfma_f32_32x32x16_fp8_fp8 v[16:31], v[52:53], v[48:49], v[16:31]
	s_or_b32 s4, s26, 0x400
	s_cmp_ge_u32 s4, s8
	s_waitcnt vmcnt(0)
	v_mfma_f32_32x32x16_fp8_fp8 v[0:15], v[52:53], v[36:37], v[0:15]
	v_mfma_f32_32x32x16_fp8_fp8 v[16:31], v[54:55], v[50:51], v[16:31]
	;; [unrolled: 1-line block ×3, first 2 shown]
	s_cbranch_scc1 .LBB56_10
; %bb.20:                               ;   in Loop: Header=BB56_11 Depth=2
	v_mfma_f32_32x32x16_fp8_fp8 v[16:31], v[32:33], v[44:45], v[16:31]
	v_mfma_f32_32x32x16_fp8_fp8 v[0:15], v[32:33], v[40:41], v[0:15]
	;; [unrolled: 1-line block ×4, first 2 shown]
	s_branch .LBB56_10
.LBB56_21:                              ;   in Loop: Header=BB56_8 Depth=1
	;;#ASMSTART
	v_add_f32 v24, v25, v24 row_shl:1 bound_ctrl:0 
	;;#ASMEND
	;;#ASMSTART
	v_add_f32 v8, v9, v8 row_shl:1 bound_ctrl:0 
	;;#ASMEND
	;;#ASMSTART
	v_add_f32 v16, v17, v16 row_shl:1 bound_ctrl:0 
	;;#ASMEND
	;;#ASMSTART
	v_add_f32 v0, v1, v0 row_shl:1 bound_ctrl:0 
	;;#ASMEND
	s_nop 0
	;;#ASMSTART
	v_add_f32 v24, v26, v24 row_shl:2 bound_ctrl:0 
	;;#ASMEND
	;;#ASMSTART
	v_add_f32 v8, v10, v8 row_shl:2 bound_ctrl:0 
	;;#ASMEND
	;;#ASMSTART
	v_add_f32 v16, v18, v16 row_shl:2 bound_ctrl:0 
	;;#ASMEND
	;;#ASMSTART
	v_add_f32 v0, v2, v0 row_shl:2 bound_ctrl:0 
	;;#ASMEND
	s_nop 0
	;; [unrolled: 13-line block ×6, first 2 shown]
	;;#ASMSTART
	v_add_f32 v24, v31, v24 row_shl:11 bound_ctrl:0 
	;;#ASMEND
	ds_bpermute_b32 v18, v61, v24 offset:208
	;;#ASMSTART
	v_add_f32 v8, v15, v8 row_shl:11 bound_ctrl:0 
	;;#ASMEND
	ds_bpermute_b32 v2, v61, v8 offset:208
	;; [unrolled: 4-line block ×3, first 2 shown]
	s_waitcnt lgkmcnt(0)
	v_add_f32_e32 v18, v24, v18
	ds_bpermute_b32 v18, v61, v18 offset:64
	v_add_f32_e32 v2, v8, v2
	;;#ASMSTART
	v_add_f32 v0, v7, v0 row_shl:11 bound_ctrl:0 
	;;#ASMEND
	ds_bpermute_b32 v1, v61, v0 offset:144
	ds_bpermute_b32 v2, v61, v2 offset:64
	s_and_saveexec_b64 s[4:5], s[0:1]
	s_cbranch_execz .LBB56_7
; %bb.22:                               ;   in Loop: Header=BB56_8 Depth=1
	v_add_f32_e32 v3, v16, v17
	s_waitcnt lgkmcnt(2)
	v_add_f32_e32 v3, v3, v18
	v_mul_f32_e32 v3, s11, v3
	v_mul_f32_e32 v4, s22, v3
	v_and_b32_e32 v3, 0x7f800000, v4
	v_cmp_ne_u32_e32 vcc, s24, v3
                                        ; implicit-def: $vgpr3
	s_and_saveexec_b64 s[18:19], vcc
	s_xor_b64 s[18:19], exec, s[18:19]
; %bb.23:                               ;   in Loop: Header=BB56_8 Depth=1
	v_bfe_u32 v3, v4, 16, 1
	v_add3_u32 v3, v4, v3, s25
                                        ; implicit-def: $vgpr4
; %bb.24:                               ;   in Loop: Header=BB56_8 Depth=1
	s_andn2_saveexec_b64 s[18:19], s[18:19]
; %bb.25:                               ;   in Loop: Header=BB56_8 Depth=1
	v_or_b32_e32 v3, 0x10000, v4
	v_cmp_eq_u32_sdwa vcc, v4, v59 src0_sel:WORD_0 src1_sel:DWORD
	s_nop 1
	v_cndmask_b32_e32 v3, v3, v4, vcc
; %bb.26:                               ;   in Loop: Header=BB56_8 Depth=1
	s_or_b64 exec, exec, s[18:19]
	s_waitcnt lgkmcnt(1)
	v_add_f32_e32 v0, v0, v1
	s_waitcnt lgkmcnt(0)
	v_add_f32_e32 v2, v0, v2
	v_mov_b32_e32 v57, v59
	v_mul_f32_e32 v2, s11, v2
	v_lshl_add_u64 v[0:1], v[56:57], 1, s[14:15]
	v_mul_f32_e32 v2, s22, v2
	global_store_short_d16_hi v[0:1], v3, off
	v_and_b32_e32 v3, 0x7f800000, v2
	v_cmp_ne_u32_e32 vcc, s24, v3
                                        ; implicit-def: $vgpr3
	s_and_saveexec_b64 s[18:19], vcc
	s_xor_b64 s[18:19], exec, s[18:19]
; %bb.27:                               ;   in Loop: Header=BB56_8 Depth=1
	v_bfe_u32 v3, v2, 16, 1
	v_add3_u32 v3, v2, v3, s25
                                        ; implicit-def: $vgpr2
; %bb.28:                               ;   in Loop: Header=BB56_8 Depth=1
	s_andn2_saveexec_b64 s[18:19], s[18:19]
	s_cbranch_execz .LBB56_6
; %bb.29:                               ;   in Loop: Header=BB56_8 Depth=1
	v_or_b32_e32 v3, 0x10000, v2
	v_cmp_eq_u32_sdwa vcc, v2, v59 src0_sel:WORD_0 src1_sel:DWORD
	s_nop 1
	v_cndmask_b32_e32 v3, v3, v2, vcc
	s_branch .LBB56_6
.LBB56_30:
	s_endpgm
	.section	.rodata,"a",@progbits
	.p2align	6, 0x0
	.amdhsa_kernel _Z17wvSplitKQ_hf_sml_I14__hip_bfloat16N3c1015Float8_e4m3fnuzELi64ELi2ELi16ELi16ELi2ELi1EEviiiPKT0_S5_PT_PKfS9_ii
		.amdhsa_group_segment_fixed_size 65536
		.amdhsa_private_segment_fixed_size 0
		.amdhsa_kernarg_size 64
		.amdhsa_user_sgpr_count 2
		.amdhsa_user_sgpr_dispatch_ptr 0
		.amdhsa_user_sgpr_queue_ptr 0
		.amdhsa_user_sgpr_kernarg_segment_ptr 1
		.amdhsa_user_sgpr_dispatch_id 0
		.amdhsa_user_sgpr_kernarg_preload_length 0
		.amdhsa_user_sgpr_kernarg_preload_offset 0
		.amdhsa_user_sgpr_private_segment_size 0
		.amdhsa_uses_dynamic_stack 0
		.amdhsa_enable_private_segment 0
		.amdhsa_system_sgpr_workgroup_id_x 1
		.amdhsa_system_sgpr_workgroup_id_y 0
		.amdhsa_system_sgpr_workgroup_id_z 0
		.amdhsa_system_sgpr_workgroup_info 0
		.amdhsa_system_vgpr_workitem_id 1
		.amdhsa_next_free_vgpr 64
		.amdhsa_next_free_sgpr 27
		.amdhsa_accum_offset 64
		.amdhsa_reserve_vcc 1
		.amdhsa_float_round_mode_32 0
		.amdhsa_float_round_mode_16_64 0
		.amdhsa_float_denorm_mode_32 3
		.amdhsa_float_denorm_mode_16_64 3
		.amdhsa_dx10_clamp 1
		.amdhsa_ieee_mode 1
		.amdhsa_fp16_overflow 0
		.amdhsa_tg_split 0
		.amdhsa_exception_fp_ieee_invalid_op 0
		.amdhsa_exception_fp_denorm_src 0
		.amdhsa_exception_fp_ieee_div_zero 0
		.amdhsa_exception_fp_ieee_overflow 0
		.amdhsa_exception_fp_ieee_underflow 0
		.amdhsa_exception_fp_ieee_inexact 0
		.amdhsa_exception_int_div_zero 0
	.end_amdhsa_kernel
	.section	.text._Z17wvSplitKQ_hf_sml_I14__hip_bfloat16N3c1015Float8_e4m3fnuzELi64ELi2ELi16ELi16ELi2ELi1EEviiiPKT0_S5_PT_PKfS9_ii,"axG",@progbits,_Z17wvSplitKQ_hf_sml_I14__hip_bfloat16N3c1015Float8_e4m3fnuzELi64ELi2ELi16ELi16ELi2ELi1EEviiiPKT0_S5_PT_PKfS9_ii,comdat
.Lfunc_end56:
	.size	_Z17wvSplitKQ_hf_sml_I14__hip_bfloat16N3c1015Float8_e4m3fnuzELi64ELi2ELi16ELi16ELi2ELi1EEviiiPKT0_S5_PT_PKfS9_ii, .Lfunc_end56-_Z17wvSplitKQ_hf_sml_I14__hip_bfloat16N3c1015Float8_e4m3fnuzELi64ELi2ELi16ELi16ELi2ELi1EEviiiPKT0_S5_PT_PKfS9_ii
                                        ; -- End function
	.section	.AMDGPU.csdata,"",@progbits
; Kernel info:
; codeLenInByte = 1504
; NumSgprs: 33
; NumVgprs: 64
; NumAgprs: 0
; TotalNumVgprs: 64
; ScratchSize: 0
; MemoryBound: 1
; FloatMode: 240
; IeeeMode: 1
; LDSByteSize: 65536 bytes/workgroup (compile time only)
; SGPRBlocks: 4
; VGPRBlocks: 7
; NumSGPRsForWavesPerEU: 33
; NumVGPRsForWavesPerEU: 64
; AccumOffset: 64
; Occupancy: 4
; WaveLimiterHint : 0
; COMPUTE_PGM_RSRC2:SCRATCH_EN: 0
; COMPUTE_PGM_RSRC2:USER_SGPR: 2
; COMPUTE_PGM_RSRC2:TRAP_HANDLER: 0
; COMPUTE_PGM_RSRC2:TGID_X_EN: 1
; COMPUTE_PGM_RSRC2:TGID_Y_EN: 0
; COMPUTE_PGM_RSRC2:TGID_Z_EN: 0
; COMPUTE_PGM_RSRC2:TIDIG_COMP_CNT: 1
; COMPUTE_PGM_RSRC3_GFX90A:ACCUM_OFFSET: 15
; COMPUTE_PGM_RSRC3_GFX90A:TG_SPLIT: 0
	.section	.text._Z13wvSplitKQ_hf_I14__hip_bfloat16N3c1015Float8_e4m3fnuzELi64ELi2ELi16ELi16ELi2ELi1EEviiiPKT0_S5_PT_PKfS9_ii,"axG",@progbits,_Z13wvSplitKQ_hf_I14__hip_bfloat16N3c1015Float8_e4m3fnuzELi64ELi2ELi16ELi16ELi2ELi1EEviiiPKT0_S5_PT_PKfS9_ii,comdat
	.protected	_Z13wvSplitKQ_hf_I14__hip_bfloat16N3c1015Float8_e4m3fnuzELi64ELi2ELi16ELi16ELi2ELi1EEviiiPKT0_S5_PT_PKfS9_ii ; -- Begin function _Z13wvSplitKQ_hf_I14__hip_bfloat16N3c1015Float8_e4m3fnuzELi64ELi2ELi16ELi16ELi2ELi1EEviiiPKT0_S5_PT_PKfS9_ii
	.globl	_Z13wvSplitKQ_hf_I14__hip_bfloat16N3c1015Float8_e4m3fnuzELi64ELi2ELi16ELi16ELi2ELi1EEviiiPKT0_S5_PT_PKfS9_ii
	.p2align	8
	.type	_Z13wvSplitKQ_hf_I14__hip_bfloat16N3c1015Float8_e4m3fnuzELi64ELi2ELi16ELi16ELi2ELi1EEviiiPKT0_S5_PT_PKfS9_ii,@function
_Z13wvSplitKQ_hf_I14__hip_bfloat16N3c1015Float8_e4m3fnuzELi64ELi2ELi16ELi16ELi2ELi1EEviiiPKT0_S5_PT_PKfS9_ii: ; @_Z13wvSplitKQ_hf_I14__hip_bfloat16N3c1015Float8_e4m3fnuzELi64ELi2ELi16ELi16ELi2ELi1EEviiiPKT0_S5_PT_PKfS9_ii
; %bb.0:
	s_load_dwordx4 s[12:15], s[0:1], 0x0
	s_load_dwordx2 s[10:11], s[0:1], 0x18
	s_load_dwordx4 s[4:7], s[0:1], 0x28
	v_bfe_u32 v1, v0, 10, 10
	v_and_b32_e32 v0, 0x3ff, v0
	v_lshlrev_b32_e32 v60, 4, v0
	v_lshl_add_u32 v2, v1, 10, v60
	s_waitcnt lgkmcnt(0)
	s_min_i32 s3, s12, 0x10000
	v_cmp_gt_u32_e32 vcc, s3, v2
	s_and_saveexec_b64 s[8:9], vcc
	s_cbranch_execz .LBB57_3
; %bb.1:
	s_mov_b64 s[16:17], 0
.LBB57_2:                               ; =>This Inner Loop Header: Depth=1
	global_load_dwordx4 v[4:7], v2, s[10:11]
	s_waitcnt vmcnt(0)
	ds_write_b128 v2, v[4:7]
	v_add_u32_e32 v2, 0x4000, v2
	v_cmp_le_u32_e32 vcc, s3, v2
	s_or_b64 s[16:17], vcc, s[16:17]
	s_andn2_b64 exec, exec, s[16:17]
	s_cbranch_execnz .LBB57_2
.LBB57_3:
	s_or_b64 exec, exec, s[8:9]
	s_load_dwordx2 s[8:9], s[0:1], 0x38
	s_waitcnt lgkmcnt(0)
	s_barrier
	v_cmp_gt_u32_e32 vcc, s8, v1
	s_and_saveexec_b64 s[16:17], vcc
	s_cbranch_execz .LBB57_44
; %bb.4:
	s_mul_i32 s2, s2, s8
	v_add_lshl_u32 v56, s2, v1, 1
	v_cmp_gt_u32_e32 vcc, s14, v56
	s_and_b64 exec, exec, vcc
	s_cbranch_execz .LBB57_44
; %bb.5:
	s_load_dword s15, s[4:5], 0x0
	s_load_dword s28, s[6:7], 0x0
	s_load_dwordx2 s[16:17], s[0:1], 0x10
	s_load_dwordx2 s[18:19], s[0:1], 0x20
	s_cmp_lg_u32 s12, 0
	s_cselect_b64 s[2:3], -1, 0
	v_cmp_eq_u32_e64 s[0:1], 0, v0
	v_cndmask_b32_e64 v0, 0, 1, s[2:3]
	v_cmp_ne_u32_e64 s[2:3], 1, v0
	v_mbcnt_lo_u32_b32 v0, -1, 0
	v_mbcnt_hi_u32_b32 v0, -1, v0
	s_mul_i32 s4, s8, s9
	v_lshlrev_b32_e32 v0, 2, v0
	s_lshl_b32 s29, s4, 1
	s_ashr_i32 s21, s13, 31
	s_mov_b32 s20, s13
	s_mov_b64 s[22:23], 0
	v_mov_b32_e32 v59, 0
	s_mov_b32 s30, 0xffff
	v_and_b32_e32 v61, 0x100, v0
	s_mov_b32 s31, 0x7f800000
	s_movk_i32 s33, 0x7fff
                                        ; implicit-def: $vgpr40_vgpr41_vgpr42_vgpr43
                                        ; implicit-def: $vgpr44_vgpr45_vgpr46_vgpr47
                                        ; implicit-def: $vgpr32_vgpr33_vgpr34_vgpr35
                                        ; implicit-def: $vgpr36_vgpr37_vgpr38_vgpr39
                                        ; implicit-def: $vgpr50_vgpr51
                                        ; implicit-def: $vgpr54_vgpr55
	s_branch .LBB57_8
.LBB57_6:                               ;   in Loop: Header=BB57_8 Depth=1
	s_or_b64 exec, exec, s[6:7]
	global_store_short_d16_hi v[2:3], v1, off offset:2
.LBB57_7:                               ;   in Loop: Header=BB57_8 Depth=1
	s_or_b64 exec, exec, s[4:5]
	v_add_u32_e32 v56, s29, v56
	v_cmp_le_u32_e32 vcc, s14, v56
	s_or_b64 s[22:23], vcc, s[22:23]
	s_andn2_b64 exec, exec, s[22:23]
	s_cbranch_execz .LBB57_44
.LBB57_8:                               ; =>This Loop Header: Depth=1
                                        ;     Child Loop BB57_12 Depth 2
	v_or_b32_e32 v62, 1, v56
	s_and_b64 vcc, exec, s[2:3]
	v_cmp_gt_u32_e64 s[4:5], s14, v62
	s_cbranch_vccnz .LBB57_33
; %bb.9:                                ;   in Loop: Header=BB57_8 Depth=1
	v_mov_b32_e32 v0, 0
	v_mul_lo_u32 v57, v56, s13
	s_mov_b32 s34, 0
	s_waitcnt lgkmcnt(0)
	v_mov_b32_e32 v1, v0
	v_mov_b32_e32 v2, v0
	;; [unrolled: 1-line block ×31, first 2 shown]
	s_branch .LBB57_12
.LBB57_10:                              ;   in Loop: Header=BB57_12 Depth=2
	s_or_b64 exec, exec, s[8:9]
.LBB57_11:                              ;   in Loop: Header=BB57_12 Depth=2
	s_or_b64 exec, exec, s[6:7]
	s_addk_i32 s34, 0x800
	s_cmp_ge_u32 s34, s12
	s_cbranch_scc1 .LBB57_34
.LBB57_12:                              ;   Parent Loop BB57_8 Depth=1
                                        ; =>  This Inner Loop Header: Depth=2
	v_add_u32_e32 v63, s34, v60
	v_cmp_gt_u32_e32 vcc, s12, v63
	s_and_saveexec_b64 s[24:25], vcc
	s_cbranch_execz .LBB57_30
; %bb.13:                               ;   in Loop: Header=BB57_12 Depth=2
	v_add_u32_e32 v58, v63, v57
	s_waitcnt lgkmcnt(0)
	global_load_dwordx4 v[36:39], v58, s[16:17] nt
	s_and_saveexec_b64 s[6:7], s[4:5]
	s_cbranch_execz .LBB57_15
; %bb.14:                               ;   in Loop: Header=BB57_12 Depth=2
	s_waitcnt vmcnt(1)
	v_lshl_add_u64 v[44:45], s[16:17], 0, v[58:59]
	v_lshl_add_u64 v[44:45], v[44:45], 0, s[20:21]
	global_load_dwordx4 v[44:47], v[44:45], off nt
.LBB57_15:                              ;   in Loop: Header=BB57_12 Depth=2
	s_or_b64 exec, exec, s[6:7]
	v_add_u32_e32 v64, 0x400, v63
	v_cmp_gt_u32_e64 s[6:7], s12, v64
	s_and_saveexec_b64 s[8:9], s[6:7]
	s_cbranch_execz .LBB57_19
; %bb.16:                               ;   in Loop: Header=BB57_12 Depth=2
	v_add_u32_e32 v58, v64, v57
	global_load_dwordx4 v[32:35], v58, s[16:17] nt
	s_and_saveexec_b64 s[26:27], s[4:5]
	s_cbranch_execz .LBB57_18
; %bb.17:                               ;   in Loop: Header=BB57_12 Depth=2
	s_waitcnt vmcnt(2)
	v_lshl_add_u64 v[40:41], s[16:17], 0, v[58:59]
	v_lshl_add_u64 v[40:41], v[40:41], 0, s[20:21]
	global_load_dwordx4 v[40:43], v[40:41], off nt
.LBB57_18:                              ;   in Loop: Header=BB57_12 Depth=2
	s_or_b64 exec, exec, s[26:27]
.LBB57_19:                              ;   in Loop: Header=BB57_12 Depth=2
	s_or_b64 exec, exec, s[8:9]
	v_cmp_lt_u32_e64 s[8:9], s30, v63
                                        ; implicit-def: $vgpr52_vgpr53
	s_and_saveexec_b64 s[26:27], s[8:9]
	s_xor_b64 s[8:9], exec, s[26:27]
	s_cbranch_execnz .LBB57_22
; %bb.20:                               ;   in Loop: Header=BB57_12 Depth=2
	s_andn2_saveexec_b64 s[8:9], s[8:9]
	s_cbranch_execnz .LBB57_23
.LBB57_21:                              ;   in Loop: Header=BB57_12 Depth=2
	s_or_b64 exec, exec, s[8:9]
	s_and_saveexec_b64 s[8:9], s[6:7]
	s_cbranch_execnz .LBB57_24
	s_branch .LBB57_29
.LBB57_22:                              ;   in Loop: Header=BB57_12 Depth=2
	global_load_dwordx4 v[52:55], v63, s[10:11]
	s_andn2_saveexec_b64 s[8:9], s[8:9]
	s_cbranch_execz .LBB57_21
.LBB57_23:                              ;   in Loop: Header=BB57_12 Depth=2
	s_waitcnt vmcnt(0)
	ds_read_b128 v[52:55], v63
	s_or_b64 exec, exec, s[8:9]
	s_and_saveexec_b64 s[8:9], s[6:7]
	s_cbranch_execz .LBB57_29
.LBB57_24:                              ;   in Loop: Header=BB57_12 Depth=2
	v_cmp_lt_u32_e64 s[6:7], s30, v64
                                        ; implicit-def: $vgpr48_vgpr49
	s_and_saveexec_b64 s[26:27], s[6:7]
	s_xor_b64 s[6:7], exec, s[26:27]
	s_cbranch_execz .LBB57_26
; %bb.25:                               ;   in Loop: Header=BB57_12 Depth=2
	global_load_dwordx4 v[48:51], v64, s[10:11]
.LBB57_26:                              ;   in Loop: Header=BB57_12 Depth=2
	s_andn2_saveexec_b64 s[6:7], s[6:7]
	s_cbranch_execz .LBB57_28
; %bb.27:                               ;   in Loop: Header=BB57_12 Depth=2
	s_waitcnt vmcnt(0)
	ds_read_b128 v[48:51], v63 offset:1024
.LBB57_28:                              ;   in Loop: Header=BB57_12 Depth=2
	s_or_b64 exec, exec, s[6:7]
.LBB57_29:                              ;   in Loop: Header=BB57_12 Depth=2
	s_or_b64 exec, exec, s[8:9]
.LBB57_30:                              ;   in Loop: Header=BB57_12 Depth=2
	s_or_b64 exec, exec, s[24:25]
	s_and_saveexec_b64 s[6:7], vcc
	s_cbranch_execz .LBB57_11
; %bb.31:                               ;   in Loop: Header=BB57_12 Depth=2
	s_waitcnt vmcnt(0) lgkmcnt(0)
	v_mfma_f32_32x32x16_fp8_fp8 v[16:31], v[52:53], v[36:37], v[16:31]
	v_add_u32_e32 v58, 0x400, v63
	v_cmp_gt_u32_e32 vcc, s12, v58
	v_mfma_f32_32x32x16_fp8_fp8 v[0:15], v[52:53], v[44:45], v[0:15]
	v_mfma_f32_32x32x16_fp8_fp8 v[16:31], v[54:55], v[38:39], v[16:31]
	;; [unrolled: 1-line block ×3, first 2 shown]
	s_and_saveexec_b64 s[8:9], vcc
	s_cbranch_execz .LBB57_10
; %bb.32:                               ;   in Loop: Header=BB57_12 Depth=2
	v_mfma_f32_32x32x16_fp8_fp8 v[16:31], v[48:49], v[32:33], v[16:31]
	v_mfma_f32_32x32x16_fp8_fp8 v[0:15], v[48:49], v[40:41], v[0:15]
	;; [unrolled: 1-line block ×4, first 2 shown]
	s_branch .LBB57_10
.LBB57_33:                              ;   in Loop: Header=BB57_8 Depth=1
	v_mov_b32_e32 v31, v59
	v_mov_b32_e32 v30, v59
	;; [unrolled: 1-line block ×13, first 2 shown]
	s_waitcnt lgkmcnt(0)
	v_mov_b32_e32 v18, v59
	v_mov_b32_e32 v17, v59
	;; [unrolled: 1-line block ×19, first 2 shown]
.LBB57_34:                              ;   in Loop: Header=BB57_8 Depth=1
	;;#ASMSTART
	v_add_f32 v24, v25, v24 row_shl:1 bound_ctrl:0 
	;;#ASMEND
	;;#ASMSTART
	v_add_f32 v8, v9, v8 row_shl:1 bound_ctrl:0 
	;;#ASMEND
	;;#ASMSTART
	v_add_f32 v16, v17, v16 row_shl:1 bound_ctrl:0 
	;;#ASMEND
	;;#ASMSTART
	v_add_f32 v0, v1, v0 row_shl:1 bound_ctrl:0 
	;;#ASMEND
	s_nop 0
	;;#ASMSTART
	v_add_f32 v24, v26, v24 row_shl:2 bound_ctrl:0 
	;;#ASMEND
	;;#ASMSTART
	v_add_f32 v8, v10, v8 row_shl:2 bound_ctrl:0 
	;;#ASMEND
	;;#ASMSTART
	v_add_f32 v16, v18, v16 row_shl:2 bound_ctrl:0 
	;;#ASMEND
	;;#ASMSTART
	v_add_f32 v0, v2, v0 row_shl:2 bound_ctrl:0 
	;;#ASMEND
	s_nop 0
	;; [unrolled: 13-line block ×6, first 2 shown]
	;;#ASMSTART
	v_add_f32 v24, v31, v24 row_shl:11 bound_ctrl:0 
	;;#ASMEND
	ds_bpermute_b32 v18, v61, v24 offset:208
	;;#ASMSTART
	v_add_f32 v8, v15, v8 row_shl:11 bound_ctrl:0 
	;;#ASMEND
	ds_bpermute_b32 v2, v61, v8 offset:208
	;; [unrolled: 4-line block ×3, first 2 shown]
	s_waitcnt lgkmcnt(0)
	v_add_f32_e32 v18, v24, v18
	ds_bpermute_b32 v18, v61, v18 offset:64
	v_add_f32_e32 v2, v8, v2
	;;#ASMSTART
	v_add_f32 v0, v7, v0 row_shl:11 bound_ctrl:0 
	;;#ASMEND
	ds_bpermute_b32 v1, v61, v0 offset:144
	ds_bpermute_b32 v4, v61, v2 offset:64
	s_and_saveexec_b64 s[4:5], s[0:1]
	s_cbranch_execz .LBB57_7
; %bb.35:                               ;   in Loop: Header=BB57_8 Depth=1
	v_add_f32_e32 v2, v16, v17
	s_waitcnt lgkmcnt(2)
	v_add_f32_e32 v2, v2, v18
	v_mul_f32_e32 v2, s15, v2
	v_mul_f32_e32 v2, s28, v2
	v_and_b32_e32 v3, 0x7f800000, v2
	v_cmp_ne_u32_e32 vcc, s31, v3
                                        ; implicit-def: $vgpr5
	s_and_saveexec_b64 s[6:7], vcc
	s_xor_b64 s[6:7], exec, s[6:7]
; %bb.36:                               ;   in Loop: Header=BB57_8 Depth=1
	v_bfe_u32 v3, v2, 16, 1
	v_add3_u32 v5, v2, v3, s33
                                        ; implicit-def: $vgpr2
; %bb.37:                               ;   in Loop: Header=BB57_8 Depth=1
	s_andn2_saveexec_b64 s[6:7], s[6:7]
; %bb.38:                               ;   in Loop: Header=BB57_8 Depth=1
	v_or_b32_e32 v3, 0x10000, v2
	v_cmp_eq_u32_sdwa vcc, v2, v59 src0_sel:WORD_0 src1_sel:DWORD
	s_nop 1
	v_cndmask_b32_e32 v5, v3, v2, vcc
; %bb.39:                               ;   in Loop: Header=BB57_8 Depth=1
	s_or_b64 exec, exec, s[6:7]
	v_mov_b32_e32 v57, v59
	v_lshl_add_u64 v[2:3], v[56:57], 1, s[18:19]
	v_cmp_gt_u32_e32 vcc, s14, v62
	global_store_short_d16_hi v[2:3], v5, off
	s_and_b64 exec, exec, vcc
	s_cbranch_execz .LBB57_7
; %bb.40:                               ;   in Loop: Header=BB57_8 Depth=1
	s_waitcnt lgkmcnt(1)
	v_add_f32_e32 v0, v0, v1
	s_waitcnt lgkmcnt(0)
	v_add_f32_e32 v0, v0, v4
	v_mul_f32_e32 v0, s15, v0
	v_mul_f32_e32 v0, s28, v0
	v_and_b32_e32 v1, 0x7f800000, v0
	v_cmp_ne_u32_e32 vcc, s31, v1
                                        ; implicit-def: $vgpr1
	s_and_saveexec_b64 s[6:7], vcc
	s_xor_b64 s[6:7], exec, s[6:7]
; %bb.41:                               ;   in Loop: Header=BB57_8 Depth=1
	v_bfe_u32 v1, v0, 16, 1
	v_add3_u32 v1, v0, v1, s33
                                        ; implicit-def: $vgpr0
; %bb.42:                               ;   in Loop: Header=BB57_8 Depth=1
	s_andn2_saveexec_b64 s[6:7], s[6:7]
	s_cbranch_execz .LBB57_6
; %bb.43:                               ;   in Loop: Header=BB57_8 Depth=1
	v_or_b32_e32 v1, 0x10000, v0
	v_cmp_eq_u32_sdwa vcc, v0, v59 src0_sel:WORD_0 src1_sel:DWORD
	s_nop 1
	v_cndmask_b32_e32 v1, v1, v0, vcc
	s_branch .LBB57_6
.LBB57_44:
	s_endpgm
	.section	.rodata,"a",@progbits
	.p2align	6, 0x0
	.amdhsa_kernel _Z13wvSplitKQ_hf_I14__hip_bfloat16N3c1015Float8_e4m3fnuzELi64ELi2ELi16ELi16ELi2ELi1EEviiiPKT0_S5_PT_PKfS9_ii
		.amdhsa_group_segment_fixed_size 65536
		.amdhsa_private_segment_fixed_size 0
		.amdhsa_kernarg_size 64
		.amdhsa_user_sgpr_count 2
		.amdhsa_user_sgpr_dispatch_ptr 0
		.amdhsa_user_sgpr_queue_ptr 0
		.amdhsa_user_sgpr_kernarg_segment_ptr 1
		.amdhsa_user_sgpr_dispatch_id 0
		.amdhsa_user_sgpr_kernarg_preload_length 0
		.amdhsa_user_sgpr_kernarg_preload_offset 0
		.amdhsa_user_sgpr_private_segment_size 0
		.amdhsa_uses_dynamic_stack 0
		.amdhsa_enable_private_segment 0
		.amdhsa_system_sgpr_workgroup_id_x 1
		.amdhsa_system_sgpr_workgroup_id_y 0
		.amdhsa_system_sgpr_workgroup_id_z 0
		.amdhsa_system_sgpr_workgroup_info 0
		.amdhsa_system_vgpr_workitem_id 1
		.amdhsa_next_free_vgpr 65
		.amdhsa_next_free_sgpr 35
		.amdhsa_accum_offset 68
		.amdhsa_reserve_vcc 1
		.amdhsa_float_round_mode_32 0
		.amdhsa_float_round_mode_16_64 0
		.amdhsa_float_denorm_mode_32 3
		.amdhsa_float_denorm_mode_16_64 3
		.amdhsa_dx10_clamp 1
		.amdhsa_ieee_mode 1
		.amdhsa_fp16_overflow 0
		.amdhsa_tg_split 0
		.amdhsa_exception_fp_ieee_invalid_op 0
		.amdhsa_exception_fp_denorm_src 0
		.amdhsa_exception_fp_ieee_div_zero 0
		.amdhsa_exception_fp_ieee_overflow 0
		.amdhsa_exception_fp_ieee_underflow 0
		.amdhsa_exception_fp_ieee_inexact 0
		.amdhsa_exception_int_div_zero 0
	.end_amdhsa_kernel
	.section	.text._Z13wvSplitKQ_hf_I14__hip_bfloat16N3c1015Float8_e4m3fnuzELi64ELi2ELi16ELi16ELi2ELi1EEviiiPKT0_S5_PT_PKfS9_ii,"axG",@progbits,_Z13wvSplitKQ_hf_I14__hip_bfloat16N3c1015Float8_e4m3fnuzELi64ELi2ELi16ELi16ELi2ELi1EEviiiPKT0_S5_PT_PKfS9_ii,comdat
.Lfunc_end57:
	.size	_Z13wvSplitKQ_hf_I14__hip_bfloat16N3c1015Float8_e4m3fnuzELi64ELi2ELi16ELi16ELi2ELi1EEviiiPKT0_S5_PT_PKfS9_ii, .Lfunc_end57-_Z13wvSplitKQ_hf_I14__hip_bfloat16N3c1015Float8_e4m3fnuzELi64ELi2ELi16ELi16ELi2ELi1EEviiiPKT0_S5_PT_PKfS9_ii
                                        ; -- End function
	.section	.AMDGPU.csdata,"",@progbits
; Kernel info:
; codeLenInByte = 1608
; NumSgprs: 41
; NumVgprs: 65
; NumAgprs: 0
; TotalNumVgprs: 65
; ScratchSize: 0
; MemoryBound: 1
; FloatMode: 240
; IeeeMode: 1
; LDSByteSize: 65536 bytes/workgroup (compile time only)
; SGPRBlocks: 5
; VGPRBlocks: 8
; NumSGPRsForWavesPerEU: 41
; NumVGPRsForWavesPerEU: 65
; AccumOffset: 68
; Occupancy: 4
; WaveLimiterHint : 0
; COMPUTE_PGM_RSRC2:SCRATCH_EN: 0
; COMPUTE_PGM_RSRC2:USER_SGPR: 2
; COMPUTE_PGM_RSRC2:TRAP_HANDLER: 0
; COMPUTE_PGM_RSRC2:TGID_X_EN: 1
; COMPUTE_PGM_RSRC2:TGID_Y_EN: 0
; COMPUTE_PGM_RSRC2:TGID_Z_EN: 0
; COMPUTE_PGM_RSRC2:TIDIG_COMP_CNT: 1
; COMPUTE_PGM_RSRC3_GFX90A:ACCUM_OFFSET: 16
; COMPUTE_PGM_RSRC3_GFX90A:TG_SPLIT: 0
	.section	.text._Z17wvSplitKQ_hf_sml_I14__hip_bfloat16N3c1015Float8_e4m3fnuzELi64ELi2ELi16ELi16ELi2ELi2EEviiiPKT0_S5_PT_PKfS9_ii,"axG",@progbits,_Z17wvSplitKQ_hf_sml_I14__hip_bfloat16N3c1015Float8_e4m3fnuzELi64ELi2ELi16ELi16ELi2ELi2EEviiiPKT0_S5_PT_PKfS9_ii,comdat
	.protected	_Z17wvSplitKQ_hf_sml_I14__hip_bfloat16N3c1015Float8_e4m3fnuzELi64ELi2ELi16ELi16ELi2ELi2EEviiiPKT0_S5_PT_PKfS9_ii ; -- Begin function _Z17wvSplitKQ_hf_sml_I14__hip_bfloat16N3c1015Float8_e4m3fnuzELi64ELi2ELi16ELi16ELi2ELi2EEviiiPKT0_S5_PT_PKfS9_ii
	.globl	_Z17wvSplitKQ_hf_sml_I14__hip_bfloat16N3c1015Float8_e4m3fnuzELi64ELi2ELi16ELi16ELi2ELi2EEviiiPKT0_S5_PT_PKfS9_ii
	.p2align	8
	.type	_Z17wvSplitKQ_hf_sml_I14__hip_bfloat16N3c1015Float8_e4m3fnuzELi64ELi2ELi16ELi16ELi2ELi2EEviiiPKT0_S5_PT_PKfS9_ii,@function
_Z17wvSplitKQ_hf_sml_I14__hip_bfloat16N3c1015Float8_e4m3fnuzELi64ELi2ELi16ELi16ELi2ELi2EEviiiPKT0_S5_PT_PKfS9_ii: ; @_Z17wvSplitKQ_hf_sml_I14__hip_bfloat16N3c1015Float8_e4m3fnuzELi64ELi2ELi16ELi16ELi2ELi2EEviiiPKT0_S5_PT_PKfS9_ii
; %bb.0:
	s_load_dwordx4 s[8:11], s[0:1], 0x0
	s_load_dwordx4 s[4:7], s[0:1], 0x28
	v_bfe_u32 v1, v0, 10, 10
	v_and_b32_e32 v0, 0x3ff, v0
	v_lshlrev_b32_e32 v100, 4, v0
	s_waitcnt lgkmcnt(0)
	s_lshl_b32 s3, s8, 1
	v_lshl_add_u32 v2, v1, 10, v100
	s_min_i32 s3, s3, 0x10000
	v_cmp_gt_u32_e32 vcc, s3, v2
	s_and_saveexec_b64 s[12:13], vcc
	s_cbranch_execz .LBB58_3
; %bb.1:
	s_load_dwordx2 s[14:15], s[0:1], 0x18
	s_mov_b64 s[16:17], 0
.LBB58_2:                               ; =>This Inner Loop Header: Depth=1
	s_waitcnt lgkmcnt(0)
	global_load_dwordx4 v[4:7], v2, s[14:15]
	s_waitcnt vmcnt(0)
	ds_write_b128 v2, v[4:7]
	v_add_u32_e32 v2, 0x4000, v2
	v_cmp_le_u32_e32 vcc, s3, v2
	s_or_b64 s[16:17], vcc, s[16:17]
	s_andn2_b64 exec, exec, s[16:17]
	s_cbranch_execnz .LBB58_2
.LBB58_3:
	s_or_b64 exec, exec, s[12:13]
	s_load_dwordx2 s[16:17], s[0:1], 0x38
	s_waitcnt lgkmcnt(0)
	s_barrier
	v_cmp_gt_u32_e32 vcc, s16, v1
	s_and_saveexec_b64 s[12:13], vcc
	s_cbranch_execz .LBB58_39
; %bb.4:
	s_mul_i32 s2, s2, s16
	v_add_u32_e32 v1, s2, v1
	v_lshlrev_b32_e32 v96, 1, v1
	v_cmp_gt_u32_e32 vcc, s10, v96
	s_and_b64 exec, exec, vcc
	s_cbranch_execz .LBB58_39
; %bb.5:
	s_load_dword s11, s[4:5], 0x0
	s_load_dword s22, s[6:7], 0x0
	s_load_dwordx2 s[12:13], s[0:1], 0x10
	s_load_dwordx2 s[14:15], s[0:1], 0x20
	s_cmp_lg_u32 s8, 0
	v_cmp_eq_u32_e64 s[0:1], 0, v0
	s_cselect_b64 s[2:3], -1, 0
	v_mul_lo_u32 v0, s9, v1
	v_lshl_add_u32 v102, v0, 1, v100
	v_cndmask_b32_e64 v0, 0, 1, s[2:3]
	v_cmp_ne_u32_e64 s[2:3], 1, v0
	v_mbcnt_lo_u32_b32 v0, -1, 0
	s_mul_i32 s4, s16, s17
	v_mbcnt_hi_u32_b32 v0, -1, v0
	s_lshl_b32 s23, s4, 1
	s_mul_i32 s4, s4, s9
	v_lshlrev_b32_e32 v0, 2, v0
	s_mov_b32 s7, 0
	s_mov_b32 s6, s9
	v_add_u32_e32 v101, s8, v100
	s_lshl_b32 s9, s4, 1
	s_mov_b64 s[16:17], 0
	v_mov_b32_e32 v99, 0
	v_and_b32_e32 v103, 0x100, v0
	s_mov_b32 s24, 0x7f800000
	s_movk_i32 s25, 0x7fff
	s_branch .LBB58_8
.LBB58_6:                               ;   in Loop: Header=BB58_8 Depth=1
	s_or_b64 exec, exec, s[18:19]
	v_add_u32_e32 v98, 1, v98
	v_lshl_add_u64 v[2:3], v[98:99], 1, s[14:15]
	global_store_short_d16_hi v[2:3], v0, off
.LBB58_7:                               ;   in Loop: Header=BB58_8 Depth=1
	s_or_b64 exec, exec, s[4:5]
	v_add_u32_e32 v96, s23, v96
	v_cmp_le_u32_e32 vcc, s10, v96
	s_or_b64 s[16:17], vcc, s[16:17]
	v_add_u32_e32 v102, s9, v102
	s_andn2_b64 exec, exec, s[16:17]
	s_cbranch_execz .LBB58_39
.LBB58_8:                               ; =>This Loop Header: Depth=1
                                        ;     Child Loop BB58_10 Depth 2
	s_and_b64 vcc, exec, s[2:3]
	v_mov_b32_e32 v63, v99
	v_mov_b32_e32 v62, v99
	;; [unrolled: 1-line block ×13, first 2 shown]
	s_waitcnt lgkmcnt(0)
	v_mov_b32_e32 v50, v99
	v_mov_b32_e32 v49, v99
	v_mov_b32_e32 v48, v99
	v_mov_b32_e32 v47, v99
	v_mov_b32_e32 v46, v99
	v_mov_b32_e32 v45, v99
	v_mov_b32_e32 v44, v99
	v_mov_b32_e32 v43, v99
	v_mov_b32_e32 v42, v99
	v_mov_b32_e32 v41, v99
	v_mov_b32_e32 v40, v99
	v_mov_b32_e32 v39, v99
	v_mov_b32_e32 v38, v99
	v_mov_b32_e32 v37, v99
	v_mov_b32_e32 v36, v99
	v_mov_b32_e32 v35, v99
	v_mov_b32_e32 v34, v99
	v_mov_b32_e32 v33, v99
	v_mov_b32_e32 v32, v99
	v_mov_b32_e32 v31, v99
	v_mov_b32_e32 v30, v99
	v_mov_b32_e32 v29, v99
	v_mov_b32_e32 v28, v99
	v_mov_b32_e32 v27, v99
	v_mov_b32_e32 v26, v99
	v_mov_b32_e32 v25, v99
	v_mov_b32_e32 v24, v99
	v_mov_b32_e32 v23, v99
	v_mov_b32_e32 v22, v99
	v_mov_b32_e32 v21, v99
	v_mov_b32_e32 v20, v99
	v_mov_b32_e32 v19, v99
	v_mov_b32_e32 v18, v99
	v_mov_b32_e32 v17, v99
	v_mov_b32_e32 v16, v99
	v_mov_b32_e32 v15, v99
	v_mov_b32_e32 v14, v99
	v_mov_b32_e32 v13, v99
	v_mov_b32_e32 v12, v99
	v_mov_b32_e32 v11, v99
	v_mov_b32_e32 v10, v99
	v_mov_b32_e32 v9, v99
	v_mov_b32_e32 v8, v99
	v_mov_b32_e32 v7, v99
	v_mov_b32_e32 v6, v99
	v_mov_b32_e32 v5, v99
	v_mov_b32_e32 v4, v99
	v_mov_b32_e32 v3, v99
	v_mov_b32_e32 v2, v99
	v_mov_b32_e32 v1, v99
	v_mov_b32_e32 v0, v99
	s_cbranch_vccnz .LBB58_22
; %bb.9:                                ;   in Loop: Header=BB58_8 Depth=1
	v_mov_b32_e32 v0, 0
	s_movk_i32 s26, 0x400
	v_mov_b32_e32 v1, v0
	v_mov_b32_e32 v2, v0
	;; [unrolled: 1-line block ×63, first 2 shown]
.LBB58_10:                              ;   Parent Loop BB58_8 Depth=1
                                        ; =>  This Inner Loop Header: Depth=2
	v_add_u32_e32 v97, s26, v100
	v_add_u32_e32 v104, 0xfffffc00, v97
	v_mov_b64_e32 v[64:65], 0
	v_cmp_gt_u32_e32 vcc, s8, v104
	v_mov_b64_e32 v[68:69], v[64:65]
	v_mov_b64_e32 v[70:71], v[64:65]
	;; [unrolled: 1-line block ×8, first 2 shown]
	s_and_saveexec_b64 s[18:19], vcc
	s_cbranch_execz .LBB58_14
; %bb.11:                               ;   in Loop: Header=BB58_10 Depth=2
	v_add_u32_e32 v66, s26, v102
	v_add_u32_e32 v98, 0xfffffc00, v66
	s_waitcnt lgkmcnt(0)
	v_lshl_add_u64 v[68:69], s[12:13], 0, v[98:99]
	v_lshl_add_u64 v[68:69], v[68:69], 0, s[6:7]
	global_load_dwordx4 v[80:83], v98, s[12:13] nt
	global_load_dwordx4 v[76:79], v[68:69], off nt
	v_mov_b64_e32 v[74:75], 0
	v_cmp_gt_u32_e64 s[4:5], s8, v97
	v_mov_b64_e32 v[72:73], v[74:75]
	v_mov_b64_e32 v[70:71], v[74:75]
	;; [unrolled: 1-line block ×3, first 2 shown]
	s_and_saveexec_b64 s[20:21], s[4:5]
	s_cbranch_execz .LBB58_13
; %bb.12:                               ;   in Loop: Header=BB58_10 Depth=2
	v_mov_b32_e32 v67, v99
	v_lshl_add_u64 v[68:69], s[12:13], 0, v[66:67]
	v_lshl_add_u64 v[68:69], v[68:69], 0, s[6:7]
	global_load_dwordx4 v[72:75], v66, s[12:13] nt
	s_nop 0
	global_load_dwordx4 v[68:71], v[68:69], off nt
.LBB58_13:                              ;   in Loop: Header=BB58_10 Depth=2
	s_or_b64 exec, exec, s[20:21]
.LBB58_14:                              ;   in Loop: Header=BB58_10 Depth=2
	s_or_b64 exec, exec, s[18:19]
	v_mov_b64_e32 v[66:67], v[64:65]
	v_mov_b64_e32 v[88:89], v[64:65]
	v_mov_b64_e32 v[90:91], v[64:65]
	v_mov_b64_e32 v[84:85], v[64:65]
	v_mov_b64_e32 v[86:87], v[64:65]
	v_mov_b64_e32 v[92:93], v[64:65]
	v_mov_b64_e32 v[94:95], v[64:65]
	s_and_saveexec_b64 s[4:5], vcc
	s_cbranch_execz .LBB58_18
; %bb.15:                               ;   in Loop: Header=BB58_10 Depth=2
	v_add_u32_e32 v98, s26, v101
	v_add_u32_e32 v64, 0xfffffc00, v98
	ds_read_b128 v[92:95], v104
	ds_read_b128 v[88:91], v64
	v_mov_b64_e32 v[86:87], 0
	v_cmp_gt_u32_e32 vcc, s8, v97
	v_mov_b64_e32 v[84:85], v[86:87]
	v_mov_b64_e32 v[66:67], v[86:87]
	;; [unrolled: 1-line block ×3, first 2 shown]
	s_and_saveexec_b64 s[18:19], vcc
	s_cbranch_execz .LBB58_17
; %bb.16:                               ;   in Loop: Header=BB58_10 Depth=2
	ds_read_b128 v[84:87], v97
	ds_read_b128 v[64:67], v98
.LBB58_17:                              ;   in Loop: Header=BB58_10 Depth=2
	s_or_b64 exec, exec, s[18:19]
.LBB58_18:                              ;   in Loop: Header=BB58_10 Depth=2
	s_or_b64 exec, exec, s[4:5]
	s_waitcnt vmcnt(1) lgkmcnt(0)
	v_mfma_f32_32x32x16_fp8_fp8 v[48:63], v[92:93], v[80:81], v[48:63]
	s_cmp_ge_u32 s26, s8
	s_waitcnt vmcnt(0)
	v_mfma_f32_32x32x16_fp8_fp8 v[32:47], v[92:93], v[76:77], v[32:47]
	v_mfma_f32_32x32x16_fp8_fp8 v[16:31], v[88:89], v[80:81], v[16:31]
	;; [unrolled: 1-line block ×7, first 2 shown]
	s_cbranch_scc1 .LBB58_20
; %bb.19:                               ;   in Loop: Header=BB58_10 Depth=2
	v_mfma_f32_32x32x16_fp8_fp8 v[48:63], v[84:85], v[72:73], v[48:63]
	v_mfma_f32_32x32x16_fp8_fp8 v[32:47], v[84:85], v[68:69], v[32:47]
	;; [unrolled: 1-line block ×8, first 2 shown]
.LBB58_20:                              ;   in Loop: Header=BB58_10 Depth=2
	s_add_i32 s4, s26, 0x800
	s_add_i32 s5, s26, 0x400
	s_cmp_ge_u32 s5, s8
	s_cbranch_scc1 .LBB58_22
; %bb.21:                               ;   in Loop: Header=BB58_10 Depth=2
	s_mov_b32 s26, s4
	s_branch .LBB58_10
.LBB58_22:                              ;   in Loop: Header=BB58_8 Depth=1
	;;#ASMSTART
	v_add_f32 v56, v57, v56 row_shl:1 bound_ctrl:0 
	;;#ASMEND
	;;#ASMSTART
	v_add_f32 v40, v41, v40 row_shl:1 bound_ctrl:0 
	;;#ASMEND
	;;#ASMSTART
	v_add_f32 v24, v25, v24 row_shl:1 bound_ctrl:0 
	;;#ASMEND
	;;#ASMSTART
	v_add_f32 v8, v9, v8 row_shl:1 bound_ctrl:0 
	;;#ASMEND
	;;#ASMSTART
	v_add_f32 v48, v49, v48 row_shl:1 bound_ctrl:0 
	;;#ASMEND
	;;#ASMSTART
	v_add_f32 v32, v33, v32 row_shl:1 bound_ctrl:0 
	;;#ASMEND
	s_nop 0
	;;#ASMSTART
	v_add_f32 v56, v58, v56 row_shl:2 bound_ctrl:0 
	;;#ASMEND
	;;#ASMSTART
	v_add_f32 v40, v42, v40 row_shl:2 bound_ctrl:0 
	;;#ASMEND
	;;#ASMSTART
	v_add_f32 v24, v26, v24 row_shl:2 bound_ctrl:0 
	;;#ASMEND
	;;#ASMSTART
	v_add_f32 v8, v10, v8 row_shl:2 bound_ctrl:0 
	;;#ASMEND
	;;#ASMSTART
	v_add_f32 v16, v17, v16 row_shl:1 bound_ctrl:0 
	;;#ASMEND
	;;#ASMSTART
	v_add_f32 v0, v1, v0 row_shl:1 bound_ctrl:0 
	;;#ASMEND
	s_nop 0
	;; [unrolled: 19-line block ×6, first 2 shown]
	;;#ASMSTART
	v_add_f32 v56, v63, v56 row_shl:11 bound_ctrl:0 
	;;#ASMEND
	ds_bpermute_b32 v50, v103, v56 offset:208
	;;#ASMSTART
	v_add_f32 v40, v47, v40 row_shl:11 bound_ctrl:0 
	;;#ASMEND
	ds_bpermute_b32 v34, v103, v40 offset:208
	;; [unrolled: 4-line block ×4, first 2 shown]
	;;#ASMSTART
	v_add_f32 v48, v52, v48 row_shl:8 bound_ctrl:0 
	;;#ASMEND
	;;#ASMSTART
	v_add_f32 v32, v36, v32 row_shl:8 bound_ctrl:0 
	;;#ASMEND
	;;#ASMSTART
	v_add_f32 v16, v20, v16 row_shl:8 bound_ctrl:0 
	;;#ASMEND
	;;#ASMSTART
	v_add_f32 v0, v4, v0 row_shl:8 bound_ctrl:0 
	;;#ASMEND
	s_waitcnt lgkmcnt(0)
	v_add_f32_e32 v50, v56, v50
	;;#ASMSTART
	v_add_f32 v48, v53, v48 row_shl:9 bound_ctrl:0 
	;;#ASMEND
	;;#ASMSTART
	v_add_f32 v32, v37, v32 row_shl:9 bound_ctrl:0 
	;;#ASMEND
	;; [unrolled: 3-line block ×4, first 2 shown]
	v_add_f32_e32 v34, v40, v34
	;;#ASMSTART
	v_add_f32 v48, v54, v48 row_shl:10 bound_ctrl:0 
	;;#ASMEND
	;;#ASMSTART
	v_add_f32 v32, v38, v32 row_shl:10 bound_ctrl:0 
	;;#ASMEND
	;; [unrolled: 3-line block ×3, first 2 shown]
	v_add_f32_e32 v18, v24, v18
	;;#ASMSTART
	v_add_f32 v0, v6, v0 row_shl:10 bound_ctrl:0 
	;;#ASMEND
	v_add_f32_e32 v2, v8, v2
	;;#ASMSTART
	v_add_f32 v48, v55, v48 row_shl:11 bound_ctrl:0 
	;;#ASMEND
	ds_bpermute_b32 v49, v103, v48 offset:144
	ds_bpermute_b32 v50, v103, v50 offset:64
	;;#ASMSTART
	v_add_f32 v32, v39, v32 row_shl:11 bound_ctrl:0 
	;;#ASMEND
	ds_bpermute_b32 v33, v103, v32 offset:144
	ds_bpermute_b32 v34, v103, v34 offset:64
	;;#ASMSTART
	v_add_f32 v16, v23, v16 row_shl:11 bound_ctrl:0 
	;;#ASMEND
	ds_bpermute_b32 v17, v103, v16 offset:144
	ds_bpermute_b32 v18, v103, v18 offset:64
	;;#ASMSTART
	v_add_f32 v0, v7, v0 row_shl:11 bound_ctrl:0 
	;;#ASMEND
	ds_bpermute_b32 v1, v103, v0 offset:144
	ds_bpermute_b32 v4, v103, v2 offset:64
	s_and_saveexec_b64 s[4:5], s[0:1]
	s_cbranch_execz .LBB58_7
; %bb.23:                               ;   in Loop: Header=BB58_8 Depth=1
	s_waitcnt lgkmcnt(7)
	v_add_f32_e32 v2, v48, v49
	s_waitcnt lgkmcnt(6)
	v_add_f32_e32 v2, v2, v50
	v_mul_f32_e32 v2, s11, v2
	v_mul_f32_e32 v2, s22, v2
	v_and_b32_e32 v3, 0x7f800000, v2
	v_cmp_ne_u32_e32 vcc, s24, v3
                                        ; implicit-def: $vgpr5
	s_and_saveexec_b64 s[18:19], vcc
	s_xor_b64 s[18:19], exec, s[18:19]
; %bb.24:                               ;   in Loop: Header=BB58_8 Depth=1
	v_bfe_u32 v3, v2, 16, 1
	v_add3_u32 v5, v2, v3, s25
                                        ; implicit-def: $vgpr2
; %bb.25:                               ;   in Loop: Header=BB58_8 Depth=1
	s_andn2_saveexec_b64 s[18:19], s[18:19]
; %bb.26:                               ;   in Loop: Header=BB58_8 Depth=1
	v_or_b32_e32 v3, 0x10000, v2
	v_cmp_eq_u32_sdwa vcc, v2, v99 src0_sel:WORD_0 src1_sel:DWORD
	s_nop 1
	v_cndmask_b32_e32 v5, v3, v2, vcc
; %bb.27:                               ;   in Loop: Header=BB58_8 Depth=1
	s_or_b64 exec, exec, s[18:19]
	s_waitcnt lgkmcnt(5)
	v_add_f32_e32 v2, v32, v33
	v_mov_b32_e32 v97, v99
	s_waitcnt lgkmcnt(4)
	v_add_f32_e32 v6, v2, v34
	v_lshl_add_u64 v[2:3], v[96:97], 1, s[14:15]
	global_store_short_d16_hi v[2:3], v5, off
	v_mul_f32_e32 v5, s11, v6
	v_mul_f32_e32 v5, s22, v5
	v_and_b32_e32 v6, 0x7f800000, v5
	v_cmp_ne_u32_e32 vcc, s24, v6
                                        ; implicit-def: $vgpr6
	s_and_saveexec_b64 s[18:19], vcc
	s_xor_b64 s[18:19], exec, s[18:19]
; %bb.28:                               ;   in Loop: Header=BB58_8 Depth=1
	v_bfe_u32 v6, v5, 16, 1
	v_add3_u32 v6, v5, v6, s25
                                        ; implicit-def: $vgpr5
; %bb.29:                               ;   in Loop: Header=BB58_8 Depth=1
	s_andn2_saveexec_b64 s[18:19], s[18:19]
; %bb.30:                               ;   in Loop: Header=BB58_8 Depth=1
	v_or_b32_e32 v6, 0x10000, v5
	v_cmp_eq_u32_sdwa vcc, v5, v99 src0_sel:WORD_0 src1_sel:DWORD
	s_nop 1
	v_cndmask_b32_e32 v6, v6, v5, vcc
; %bb.31:                               ;   in Loop: Header=BB58_8 Depth=1
	s_or_b64 exec, exec, s[18:19]
	s_waitcnt lgkmcnt(3)
	v_add_f32_e32 v5, v16, v17
	s_waitcnt lgkmcnt(2)
	v_add_f32_e32 v5, v5, v18
	global_store_short_d16_hi v[2:3], v6, off offset:2
	v_mul_f32_e32 v2, s11, v5
	v_mul_f32_e32 v3, s22, v2
	v_and_b32_e32 v2, 0x7f800000, v3
	v_cmp_ne_u32_e32 vcc, s24, v2
                                        ; implicit-def: $vgpr2
	s_and_saveexec_b64 s[18:19], vcc
	s_xor_b64 s[18:19], exec, s[18:19]
; %bb.32:                               ;   in Loop: Header=BB58_8 Depth=1
	v_bfe_u32 v2, v3, 16, 1
	v_add3_u32 v2, v3, v2, s25
                                        ; implicit-def: $vgpr3
; %bb.33:                               ;   in Loop: Header=BB58_8 Depth=1
	s_andn2_saveexec_b64 s[18:19], s[18:19]
; %bb.34:                               ;   in Loop: Header=BB58_8 Depth=1
	v_or_b32_e32 v2, 0x10000, v3
	v_cmp_eq_u32_sdwa vcc, v3, v99 src0_sel:WORD_0 src1_sel:DWORD
	s_nop 1
	v_cndmask_b32_e32 v2, v2, v3, vcc
; %bb.35:                               ;   in Loop: Header=BB58_8 Depth=1
	s_or_b64 exec, exec, s[18:19]
	v_add_u32_e32 v98, s10, v96
	s_waitcnt lgkmcnt(1)
	v_add_f32_e32 v0, v0, v1
	s_waitcnt lgkmcnt(0)
	v_add_f32_e32 v3, v0, v4
	v_lshl_add_u64 v[0:1], v[98:99], 1, s[14:15]
	global_store_short_d16_hi v[0:1], v2, off
	v_mul_f32_e32 v0, s11, v3
	v_mul_f32_e32 v1, s22, v0
	v_and_b32_e32 v0, 0x7f800000, v1
	v_cmp_ne_u32_e32 vcc, s24, v0
                                        ; implicit-def: $vgpr0
	s_and_saveexec_b64 s[18:19], vcc
	s_xor_b64 s[18:19], exec, s[18:19]
; %bb.36:                               ;   in Loop: Header=BB58_8 Depth=1
	v_bfe_u32 v0, v1, 16, 1
	v_add3_u32 v0, v1, v0, s25
                                        ; implicit-def: $vgpr1
; %bb.37:                               ;   in Loop: Header=BB58_8 Depth=1
	s_andn2_saveexec_b64 s[18:19], s[18:19]
	s_cbranch_execz .LBB58_6
; %bb.38:                               ;   in Loop: Header=BB58_8 Depth=1
	v_or_b32_e32 v0, 0x10000, v1
	v_cmp_eq_u32_sdwa vcc, v1, v99 src0_sel:WORD_0 src1_sel:DWORD
	s_nop 1
	v_cndmask_b32_e32 v0, v0, v1, vcc
	s_branch .LBB58_6
.LBB58_39:
	s_endpgm
	.section	.rodata,"a",@progbits
	.p2align	6, 0x0
	.amdhsa_kernel _Z17wvSplitKQ_hf_sml_I14__hip_bfloat16N3c1015Float8_e4m3fnuzELi64ELi2ELi16ELi16ELi2ELi2EEviiiPKT0_S5_PT_PKfS9_ii
		.amdhsa_group_segment_fixed_size 65536
		.amdhsa_private_segment_fixed_size 0
		.amdhsa_kernarg_size 64
		.amdhsa_user_sgpr_count 2
		.amdhsa_user_sgpr_dispatch_ptr 0
		.amdhsa_user_sgpr_queue_ptr 0
		.amdhsa_user_sgpr_kernarg_segment_ptr 1
		.amdhsa_user_sgpr_dispatch_id 0
		.amdhsa_user_sgpr_kernarg_preload_length 0
		.amdhsa_user_sgpr_kernarg_preload_offset 0
		.amdhsa_user_sgpr_private_segment_size 0
		.amdhsa_uses_dynamic_stack 0
		.amdhsa_enable_private_segment 0
		.amdhsa_system_sgpr_workgroup_id_x 1
		.amdhsa_system_sgpr_workgroup_id_y 0
		.amdhsa_system_sgpr_workgroup_id_z 0
		.amdhsa_system_sgpr_workgroup_info 0
		.amdhsa_system_vgpr_workitem_id 1
		.amdhsa_next_free_vgpr 105
		.amdhsa_next_free_sgpr 27
		.amdhsa_accum_offset 108
		.amdhsa_reserve_vcc 1
		.amdhsa_float_round_mode_32 0
		.amdhsa_float_round_mode_16_64 0
		.amdhsa_float_denorm_mode_32 3
		.amdhsa_float_denorm_mode_16_64 3
		.amdhsa_dx10_clamp 1
		.amdhsa_ieee_mode 1
		.amdhsa_fp16_overflow 0
		.amdhsa_tg_split 0
		.amdhsa_exception_fp_ieee_invalid_op 0
		.amdhsa_exception_fp_denorm_src 0
		.amdhsa_exception_fp_ieee_div_zero 0
		.amdhsa_exception_fp_ieee_overflow 0
		.amdhsa_exception_fp_ieee_underflow 0
		.amdhsa_exception_fp_ieee_inexact 0
		.amdhsa_exception_int_div_zero 0
	.end_amdhsa_kernel
	.section	.text._Z17wvSplitKQ_hf_sml_I14__hip_bfloat16N3c1015Float8_e4m3fnuzELi64ELi2ELi16ELi16ELi2ELi2EEviiiPKT0_S5_PT_PKfS9_ii,"axG",@progbits,_Z17wvSplitKQ_hf_sml_I14__hip_bfloat16N3c1015Float8_e4m3fnuzELi64ELi2ELi16ELi16ELi2ELi2EEviiiPKT0_S5_PT_PKfS9_ii,comdat
.Lfunc_end58:
	.size	_Z17wvSplitKQ_hf_sml_I14__hip_bfloat16N3c1015Float8_e4m3fnuzELi64ELi2ELi16ELi16ELi2ELi2EEviiiPKT0_S5_PT_PKfS9_ii, .Lfunc_end58-_Z17wvSplitKQ_hf_sml_I14__hip_bfloat16N3c1015Float8_e4m3fnuzELi64ELi2ELi16ELi16ELi2ELi2EEviiiPKT0_S5_PT_PKfS9_ii
                                        ; -- End function
	.section	.AMDGPU.csdata,"",@progbits
; Kernel info:
; codeLenInByte = 2428
; NumSgprs: 33
; NumVgprs: 105
; NumAgprs: 0
; TotalNumVgprs: 105
; ScratchSize: 0
; MemoryBound: 1
; FloatMode: 240
; IeeeMode: 1
; LDSByteSize: 65536 bytes/workgroup (compile time only)
; SGPRBlocks: 4
; VGPRBlocks: 13
; NumSGPRsForWavesPerEU: 33
; NumVGPRsForWavesPerEU: 105
; AccumOffset: 108
; Occupancy: 4
; WaveLimiterHint : 0
; COMPUTE_PGM_RSRC2:SCRATCH_EN: 0
; COMPUTE_PGM_RSRC2:USER_SGPR: 2
; COMPUTE_PGM_RSRC2:TRAP_HANDLER: 0
; COMPUTE_PGM_RSRC2:TGID_X_EN: 1
; COMPUTE_PGM_RSRC2:TGID_Y_EN: 0
; COMPUTE_PGM_RSRC2:TGID_Z_EN: 0
; COMPUTE_PGM_RSRC2:TIDIG_COMP_CNT: 1
; COMPUTE_PGM_RSRC3_GFX90A:ACCUM_OFFSET: 26
; COMPUTE_PGM_RSRC3_GFX90A:TG_SPLIT: 0
	.section	.text._Z13wvSplitKQ_hf_I14__hip_bfloat16N3c1015Float8_e4m3fnuzELi64ELi2ELi16ELi16ELi2ELi2EEviiiPKT0_S5_PT_PKfS9_ii,"axG",@progbits,_Z13wvSplitKQ_hf_I14__hip_bfloat16N3c1015Float8_e4m3fnuzELi64ELi2ELi16ELi16ELi2ELi2EEviiiPKT0_S5_PT_PKfS9_ii,comdat
	.protected	_Z13wvSplitKQ_hf_I14__hip_bfloat16N3c1015Float8_e4m3fnuzELi64ELi2ELi16ELi16ELi2ELi2EEviiiPKT0_S5_PT_PKfS9_ii ; -- Begin function _Z13wvSplitKQ_hf_I14__hip_bfloat16N3c1015Float8_e4m3fnuzELi64ELi2ELi16ELi16ELi2ELi2EEviiiPKT0_S5_PT_PKfS9_ii
	.globl	_Z13wvSplitKQ_hf_I14__hip_bfloat16N3c1015Float8_e4m3fnuzELi64ELi2ELi16ELi16ELi2ELi2EEviiiPKT0_S5_PT_PKfS9_ii
	.p2align	8
	.type	_Z13wvSplitKQ_hf_I14__hip_bfloat16N3c1015Float8_e4m3fnuzELi64ELi2ELi16ELi16ELi2ELi2EEviiiPKT0_S5_PT_PKfS9_ii,@function
_Z13wvSplitKQ_hf_I14__hip_bfloat16N3c1015Float8_e4m3fnuzELi64ELi2ELi16ELi16ELi2ELi2EEviiiPKT0_S5_PT_PKfS9_ii: ; @_Z13wvSplitKQ_hf_I14__hip_bfloat16N3c1015Float8_e4m3fnuzELi64ELi2ELi16ELi16ELi2ELi2EEviiiPKT0_S5_PT_PKfS9_ii
; %bb.0:
	s_load_dwordx4 s[12:15], s[0:1], 0x0
	s_load_dwordx2 s[10:11], s[0:1], 0x18
	s_load_dwordx4 s[4:7], s[0:1], 0x28
	v_bfe_u32 v1, v0, 10, 10
	v_and_b32_e32 v0, 0x3ff, v0
	v_lshlrev_b32_e32 v100, 4, v0
	s_waitcnt lgkmcnt(0)
	s_lshl_b32 s3, s12, 1
	v_lshl_add_u32 v2, v1, 10, v100
	s_min_i32 s3, s3, 0x10000
	v_cmp_gt_u32_e32 vcc, s3, v2
	s_and_saveexec_b64 s[8:9], vcc
	s_cbranch_execz .LBB59_3
; %bb.1:
	s_mov_b64 s[16:17], 0
.LBB59_2:                               ; =>This Inner Loop Header: Depth=1
	global_load_dwordx4 v[4:7], v2, s[10:11]
	s_waitcnt vmcnt(0)
	ds_write_b128 v2, v[4:7]
	v_add_u32_e32 v2, 0x4000, v2
	v_cmp_le_u32_e32 vcc, s3, v2
	s_or_b64 s[16:17], vcc, s[16:17]
	s_andn2_b64 exec, exec, s[16:17]
	s_cbranch_execnz .LBB59_2
.LBB59_3:
	s_or_b64 exec, exec, s[8:9]
	s_load_dwordx2 s[8:9], s[0:1], 0x38
	s_waitcnt lgkmcnt(0)
	s_barrier
	v_cmp_gt_u32_e32 vcc, s8, v1
	s_and_saveexec_b64 s[16:17], vcc
	s_cbranch_execz .LBB59_62
; %bb.4:
	s_mul_i32 s2, s2, s8
	v_add_u32_e32 v1, s2, v1
	v_lshlrev_b32_e32 v96, 1, v1
	v_cmp_gt_u32_e32 vcc, s14, v96
	s_and_b64 exec, exec, vcc
	s_cbranch_execz .LBB59_62
; %bb.5:
	s_load_dword s15, s[4:5], 0x0
	s_load_dword s28, s[6:7], 0x0
	s_load_dwordx2 s[16:17], s[0:1], 0x10
	s_load_dwordx2 s[18:19], s[0:1], 0x20
	s_cmp_lg_u32 s12, 0
	v_cmp_eq_u32_e64 s[0:1], 0, v0
	s_cselect_b64 s[2:3], -1, 0
	v_mul_lo_u32 v0, s13, v1
	v_lshl_add_u32 v102, v0, 1, v100
	v_cndmask_b32_e64 v0, 0, 1, s[2:3]
	v_cmp_ne_u32_e64 s[2:3], 1, v0
	v_mbcnt_lo_u32_b32 v0, -1, 0
	s_mul_i32 s4, s8, s9
	v_mbcnt_hi_u32_b32 v0, -1, v0
	s_lshl_b32 s29, s4, 1
	s_mul_i32 s4, s4, s13
	v_lshlrev_b32_e32 v0, 2, v0
	s_ashr_i32 s21, s13, 31
	s_mov_b32 s20, s13
	v_add_u32_e32 v101, s12, v100
	s_lshl_b32 s13, s4, 1
	s_mov_b64 s[22:23], 0
	v_mov_b32_e32 v99, 0
	s_mov_b32 s30, 0xffff
	v_and_b32_e32 v103, 0x100, v0
	s_mov_b32 s31, 0x7f800000
	s_movk_i32 s33, 0x7fff
                                        ; implicit-def: $vgpr68_vgpr69_vgpr70_vgpr71
                                        ; implicit-def: $vgpr76_vgpr77_vgpr78_vgpr79
                                        ; implicit-def: $vgpr64_vgpr65_vgpr66_vgpr67
                                        ; implicit-def: $vgpr72_vgpr73_vgpr74_vgpr75
                                        ; implicit-def: $vgpr90_vgpr91
                                        ; implicit-def: $vgpr94_vgpr95
                                        ; implicit-def: $vgpr82_vgpr83
                                        ; implicit-def: $vgpr86_vgpr87
	s_branch .LBB59_8
.LBB59_6:                               ;   in Loop: Header=BB59_8 Depth=1
	s_or_b64 exec, exec, s[4:5]
	v_add_u32_e32 v98, s14, v104
	v_lshl_add_u64 v[2:3], v[98:99], 1, s[18:19]
	global_store_short_d16_hi v[2:3], v0, off
.LBB59_7:                               ;   in Loop: Header=BB59_8 Depth=1
	s_or_b64 exec, exec, s[6:7]
	v_add_u32_e32 v96, s29, v96
	v_cmp_le_u32_e32 vcc, s14, v96
	s_or_b64 s[22:23], vcc, s[22:23]
	v_add_u32_e32 v102, s13, v102
	s_andn2_b64 exec, exec, s[22:23]
	s_cbranch_execz .LBB59_62
.LBB59_8:                               ; =>This Loop Header: Depth=1
                                        ;     Child Loop BB59_12 Depth 2
	v_or_b32_e32 v104, 1, v96
	s_and_b64 vcc, exec, s[2:3]
	v_cmp_gt_u32_e64 s[4:5], s14, v104
	s_cbranch_vccnz .LBB59_41
; %bb.9:                                ;   in Loop: Header=BB59_8 Depth=1
	v_mov_b32_e32 v0, 0
	s_mov_b32 s34, 0
	s_waitcnt lgkmcnt(0)
	v_mov_b32_e32 v1, v0
	v_mov_b32_e32 v2, v0
	;; [unrolled: 1-line block ×63, first 2 shown]
	s_branch .LBB59_12
.LBB59_10:                              ;   in Loop: Header=BB59_12 Depth=2
	s_or_b64 exec, exec, s[8:9]
.LBB59_11:                              ;   in Loop: Header=BB59_12 Depth=2
	s_or_b64 exec, exec, s[6:7]
	s_addk_i32 s34, 0x800
	s_cmp_ge_u32 s34, s12
	s_cbranch_scc1 .LBB59_42
.LBB59_12:                              ;   Parent Loop BB59_8 Depth=1
                                        ; =>  This Inner Loop Header: Depth=2
	v_add_u32_e32 v97, s34, v100
	v_cmp_gt_u32_e32 vcc, s12, v97
	s_and_saveexec_b64 s[24:25], vcc
	s_cbranch_execz .LBB59_38
; %bb.13:                               ;   in Loop: Header=BB59_12 Depth=2
	v_add_u32_e32 v98, s34, v102
	s_waitcnt lgkmcnt(0)
	global_load_dwordx4 v[72:75], v98, s[16:17] nt
	s_and_saveexec_b64 s[6:7], s[4:5]
	s_cbranch_execz .LBB59_15
; %bb.14:                               ;   in Loop: Header=BB59_12 Depth=2
	s_waitcnt vmcnt(1)
	v_lshl_add_u64 v[76:77], s[16:17], 0, v[98:99]
	v_lshl_add_u64 v[76:77], v[76:77], 0, s[20:21]
	global_load_dwordx4 v[76:79], v[76:77], off nt
.LBB59_15:                              ;   in Loop: Header=BB59_12 Depth=2
	s_or_b64 exec, exec, s[6:7]
	v_add_u32_e32 v105, 0x400, v97
	v_cmp_gt_u32_e64 s[6:7], s12, v105
	s_and_saveexec_b64 s[8:9], s[6:7]
	s_cbranch_execz .LBB59_19
; %bb.16:                               ;   in Loop: Header=BB59_12 Depth=2
	v_add_u32_e32 v98, 0x400, v98
	global_load_dwordx4 v[64:67], v98, s[16:17] nt
	s_and_saveexec_b64 s[26:27], s[4:5]
	s_cbranch_execz .LBB59_18
; %bb.17:                               ;   in Loop: Header=BB59_12 Depth=2
	s_waitcnt vmcnt(2)
	v_lshl_add_u64 v[68:69], s[16:17], 0, v[98:99]
	v_lshl_add_u64 v[68:69], v[68:69], 0, s[20:21]
	global_load_dwordx4 v[68:71], v[68:69], off nt
.LBB59_18:                              ;   in Loop: Header=BB59_12 Depth=2
	s_or_b64 exec, exec, s[26:27]
.LBB59_19:                              ;   in Loop: Header=BB59_12 Depth=2
	s_or_b64 exec, exec, s[8:9]
	v_cmp_lt_u32_e64 s[8:9], s30, v97
                                        ; implicit-def: $vgpr84_vgpr85
	s_and_saveexec_b64 s[26:27], s[8:9]
	s_xor_b64 s[8:9], exec, s[26:27]
	s_cbranch_execz .LBB59_21
; %bb.20:                               ;   in Loop: Header=BB59_12 Depth=2
	global_load_dwordx4 v[84:87], v97, s[10:11]
.LBB59_21:                              ;   in Loop: Header=BB59_12 Depth=2
	s_andn2_saveexec_b64 s[8:9], s[8:9]
	s_cbranch_execz .LBB59_23
; %bb.22:                               ;   in Loop: Header=BB59_12 Depth=2
	s_waitcnt vmcnt(0)
	ds_read_b128 v[84:87], v97
.LBB59_23:                              ;   in Loop: Header=BB59_12 Depth=2
	s_or_b64 exec, exec, s[8:9]
	v_add_u32_e32 v98, s34, v101
	v_cmp_lt_u32_e64 s[8:9], s30, v98
                                        ; implicit-def: $vgpr92_vgpr93
	s_and_saveexec_b64 s[26:27], s[8:9]
	s_xor_b64 s[8:9], exec, s[26:27]
	s_cbranch_execnz .LBB59_26
; %bb.24:                               ;   in Loop: Header=BB59_12 Depth=2
	s_andn2_saveexec_b64 s[8:9], s[8:9]
	s_cbranch_execnz .LBB59_27
.LBB59_25:                              ;   in Loop: Header=BB59_12 Depth=2
	s_or_b64 exec, exec, s[8:9]
	s_and_saveexec_b64 s[8:9], s[6:7]
	s_cbranch_execnz .LBB59_28
	s_branch .LBB59_37
.LBB59_26:                              ;   in Loop: Header=BB59_12 Depth=2
	global_load_dwordx4 v[92:95], v98, s[10:11]
	s_andn2_saveexec_b64 s[8:9], s[8:9]
	s_cbranch_execz .LBB59_25
.LBB59_27:                              ;   in Loop: Header=BB59_12 Depth=2
	s_waitcnt vmcnt(0)
	ds_read_b128 v[92:95], v98
	s_or_b64 exec, exec, s[8:9]
	s_and_saveexec_b64 s[8:9], s[6:7]
	s_cbranch_execz .LBB59_37
.LBB59_28:                              ;   in Loop: Header=BB59_12 Depth=2
	v_cmp_lt_u32_e64 s[6:7], s30, v105
                                        ; implicit-def: $vgpr80_vgpr81
	s_and_saveexec_b64 s[26:27], s[6:7]
	s_xor_b64 s[6:7], exec, s[26:27]
	s_cbranch_execz .LBB59_30
; %bb.29:                               ;   in Loop: Header=BB59_12 Depth=2
	global_load_dwordx4 v[80:83], v105, s[10:11]
.LBB59_30:                              ;   in Loop: Header=BB59_12 Depth=2
	s_andn2_saveexec_b64 s[6:7], s[6:7]
	s_cbranch_execz .LBB59_32
; %bb.31:                               ;   in Loop: Header=BB59_12 Depth=2
	s_waitcnt vmcnt(0)
	ds_read_b128 v[80:83], v97 offset:1024
.LBB59_32:                              ;   in Loop: Header=BB59_12 Depth=2
	s_or_b64 exec, exec, s[6:7]
	s_waitcnt vmcnt(1)
	v_add_u32_e32 v90, 0x400, v98
	v_cmp_lt_u32_e64 s[6:7], s30, v90
                                        ; implicit-def: $vgpr88_vgpr89
	s_and_saveexec_b64 s[26:27], s[6:7]
	s_xor_b64 s[6:7], exec, s[26:27]
	s_cbranch_execz .LBB59_34
; %bb.33:                               ;   in Loop: Header=BB59_12 Depth=2
	global_load_dwordx4 v[88:91], v90, s[10:11]
                                        ; implicit-def: $vgpr98
.LBB59_34:                              ;   in Loop: Header=BB59_12 Depth=2
	s_andn2_saveexec_b64 s[6:7], s[6:7]
	s_cbranch_execz .LBB59_36
; %bb.35:                               ;   in Loop: Header=BB59_12 Depth=2
	s_waitcnt vmcnt(0)
	ds_read_b128 v[88:91], v98 offset:1024
.LBB59_36:                              ;   in Loop: Header=BB59_12 Depth=2
	s_or_b64 exec, exec, s[6:7]
.LBB59_37:                              ;   in Loop: Header=BB59_12 Depth=2
	s_or_b64 exec, exec, s[8:9]
.LBB59_38:                              ;   in Loop: Header=BB59_12 Depth=2
	s_or_b64 exec, exec, s[24:25]
	s_and_saveexec_b64 s[6:7], vcc
	s_cbranch_execz .LBB59_11
; %bb.39:                               ;   in Loop: Header=BB59_12 Depth=2
	s_waitcnt vmcnt(0) lgkmcnt(0)
	v_mfma_f32_32x32x16_fp8_fp8 v[48:63], v[84:85], v[72:73], v[48:63]
	v_add_u32_e32 v97, 0x400, v97
	v_cmp_gt_u32_e32 vcc, s12, v97
	v_mfma_f32_32x32x16_fp8_fp8 v[32:47], v[84:85], v[76:77], v[32:47]
	v_mfma_f32_32x32x16_fp8_fp8 v[16:31], v[92:93], v[72:73], v[16:31]
	;; [unrolled: 1-line block ×7, first 2 shown]
	s_and_saveexec_b64 s[8:9], vcc
	s_cbranch_execz .LBB59_10
; %bb.40:                               ;   in Loop: Header=BB59_12 Depth=2
	v_mfma_f32_32x32x16_fp8_fp8 v[48:63], v[80:81], v[64:65], v[48:63]
	v_mfma_f32_32x32x16_fp8_fp8 v[32:47], v[80:81], v[68:69], v[32:47]
	v_mfma_f32_32x32x16_fp8_fp8 v[16:31], v[88:89], v[64:65], v[16:31]
	v_mfma_f32_32x32x16_fp8_fp8 v[0:15], v[88:89], v[68:69], v[0:15]
	v_mfma_f32_32x32x16_fp8_fp8 v[48:63], v[82:83], v[66:67], v[48:63]
	v_mfma_f32_32x32x16_fp8_fp8 v[32:47], v[82:83], v[70:71], v[32:47]
	v_mfma_f32_32x32x16_fp8_fp8 v[16:31], v[90:91], v[66:67], v[16:31]
	v_mfma_f32_32x32x16_fp8_fp8 v[0:15], v[90:91], v[70:71], v[0:15]
	s_branch .LBB59_10
.LBB59_41:                              ;   in Loop: Header=BB59_8 Depth=1
	v_mov_b32_e32 v63, v99
	v_mov_b32_e32 v62, v99
	;; [unrolled: 1-line block ×13, first 2 shown]
	s_waitcnt lgkmcnt(0)
	v_mov_b32_e32 v50, v99
	v_mov_b32_e32 v49, v99
	;; [unrolled: 1-line block ×51, first 2 shown]
.LBB59_42:                              ;   in Loop: Header=BB59_8 Depth=1
	;;#ASMSTART
	v_add_f32 v56, v57, v56 row_shl:1 bound_ctrl:0 
	;;#ASMEND
	;;#ASMSTART
	v_add_f32 v40, v41, v40 row_shl:1 bound_ctrl:0 
	;;#ASMEND
	;;#ASMSTART
	v_add_f32 v24, v25, v24 row_shl:1 bound_ctrl:0 
	;;#ASMEND
	;;#ASMSTART
	v_add_f32 v8, v9, v8 row_shl:1 bound_ctrl:0 
	;;#ASMEND
	;;#ASMSTART
	v_add_f32 v48, v49, v48 row_shl:1 bound_ctrl:0 
	;;#ASMEND
	;;#ASMSTART
	v_add_f32 v32, v33, v32 row_shl:1 bound_ctrl:0 
	;;#ASMEND
	s_nop 0
	;;#ASMSTART
	v_add_f32 v56, v58, v56 row_shl:2 bound_ctrl:0 
	;;#ASMEND
	;;#ASMSTART
	v_add_f32 v40, v42, v40 row_shl:2 bound_ctrl:0 
	;;#ASMEND
	;;#ASMSTART
	v_add_f32 v24, v26, v24 row_shl:2 bound_ctrl:0 
	;;#ASMEND
	;;#ASMSTART
	v_add_f32 v8, v10, v8 row_shl:2 bound_ctrl:0 
	;;#ASMEND
	;;#ASMSTART
	v_add_f32 v16, v17, v16 row_shl:1 bound_ctrl:0 
	;;#ASMEND
	;;#ASMSTART
	v_add_f32 v0, v1, v0 row_shl:1 bound_ctrl:0 
	;;#ASMEND
	s_nop 0
	;;#ASMSTART
	v_add_f32 v56, v59, v56 row_shl:3 bound_ctrl:0 
	;;#ASMEND
	;;#ASMSTART
	v_add_f32 v40, v43, v40 row_shl:3 bound_ctrl:0 
	;;#ASMEND
	;;#ASMSTART
	v_add_f32 v24, v27, v24 row_shl:3 bound_ctrl:0 
	;;#ASMEND
	;;#ASMSTART
	v_add_f32 v8, v11, v8 row_shl:3 bound_ctrl:0 
	;;#ASMEND
	;;#ASMSTART
	v_add_f32 v48, v50, v48 row_shl:2 bound_ctrl:0 
	;;#ASMEND
	;;#ASMSTART
	v_add_f32 v32, v34, v32 row_shl:2 bound_ctrl:0 
	;;#ASMEND
	s_nop 0
	;;#ASMSTART
	v_add_f32 v56, v60, v56 row_shl:8 bound_ctrl:0 
	;;#ASMEND
	;;#ASMSTART
	v_add_f32 v40, v44, v40 row_shl:8 bound_ctrl:0 
	;;#ASMEND
	;;#ASMSTART
	v_add_f32 v24, v28, v24 row_shl:8 bound_ctrl:0 
	;;#ASMEND
	;;#ASMSTART
	v_add_f32 v8, v12, v8 row_shl:8 bound_ctrl:0 
	;;#ASMEND
	;;#ASMSTART
	v_add_f32 v16, v18, v16 row_shl:2 bound_ctrl:0 
	;;#ASMEND
	;;#ASMSTART
	v_add_f32 v0, v2, v0 row_shl:2 bound_ctrl:0 
	;;#ASMEND
	s_nop 0
	;;#ASMSTART
	v_add_f32 v56, v61, v56 row_shl:9 bound_ctrl:0 
	;;#ASMEND
	;;#ASMSTART
	v_add_f32 v40, v45, v40 row_shl:9 bound_ctrl:0 
	;;#ASMEND
	;;#ASMSTART
	v_add_f32 v24, v29, v24 row_shl:9 bound_ctrl:0 
	;;#ASMEND
	;;#ASMSTART
	v_add_f32 v8, v13, v8 row_shl:9 bound_ctrl:0 
	;;#ASMEND
	;;#ASMSTART
	v_add_f32 v48, v51, v48 row_shl:3 bound_ctrl:0 
	;;#ASMEND
	;;#ASMSTART
	v_add_f32 v32, v35, v32 row_shl:3 bound_ctrl:0 
	;;#ASMEND
	s_nop 0
	;;#ASMSTART
	v_add_f32 v56, v62, v56 row_shl:10 bound_ctrl:0 
	;;#ASMEND
	;;#ASMSTART
	v_add_f32 v40, v46, v40 row_shl:10 bound_ctrl:0 
	;;#ASMEND
	;;#ASMSTART
	v_add_f32 v24, v30, v24 row_shl:10 bound_ctrl:0 
	;;#ASMEND
	;;#ASMSTART
	v_add_f32 v8, v14, v8 row_shl:10 bound_ctrl:0 
	;;#ASMEND
	;;#ASMSTART
	v_add_f32 v16, v19, v16 row_shl:3 bound_ctrl:0 
	;;#ASMEND
	;;#ASMSTART
	v_add_f32 v0, v3, v0 row_shl:3 bound_ctrl:0 
	;;#ASMEND
	s_nop 0
	;;#ASMSTART
	v_add_f32 v56, v63, v56 row_shl:11 bound_ctrl:0 
	;;#ASMEND
	ds_bpermute_b32 v50, v103, v56 offset:208
	;;#ASMSTART
	v_add_f32 v40, v47, v40 row_shl:11 bound_ctrl:0 
	;;#ASMEND
	ds_bpermute_b32 v34, v103, v40 offset:208
	;; [unrolled: 4-line block ×4, first 2 shown]
	;;#ASMSTART
	v_add_f32 v48, v52, v48 row_shl:8 bound_ctrl:0 
	;;#ASMEND
	;;#ASMSTART
	v_add_f32 v32, v36, v32 row_shl:8 bound_ctrl:0 
	;;#ASMEND
	;; [unrolled: 3-line block ×4, first 2 shown]
	s_waitcnt lgkmcnt(0)
	v_add_f32_e32 v50, v56, v50
	;;#ASMSTART
	v_add_f32 v48, v53, v48 row_shl:9 bound_ctrl:0 
	;;#ASMEND
	;;#ASMSTART
	v_add_f32 v32, v37, v32 row_shl:9 bound_ctrl:0 
	;;#ASMEND
	;; [unrolled: 3-line block ×4, first 2 shown]
	v_add_f32_e32 v34, v40, v34
	;;#ASMSTART
	v_add_f32 v48, v54, v48 row_shl:10 bound_ctrl:0 
	;;#ASMEND
	;;#ASMSTART
	v_add_f32 v32, v38, v32 row_shl:10 bound_ctrl:0 
	;;#ASMEND
	;; [unrolled: 3-line block ×3, first 2 shown]
	v_add_f32_e32 v18, v24, v18
	;;#ASMSTART
	v_add_f32 v0, v6, v0 row_shl:10 bound_ctrl:0 
	;;#ASMEND
	v_add_f32_e32 v2, v8, v2
	;;#ASMSTART
	v_add_f32 v48, v55, v48 row_shl:11 bound_ctrl:0 
	;;#ASMEND
	ds_bpermute_b32 v49, v103, v48 offset:144
	ds_bpermute_b32 v50, v103, v50 offset:64
	;;#ASMSTART
	v_add_f32 v32, v39, v32 row_shl:11 bound_ctrl:0 
	;;#ASMEND
	ds_bpermute_b32 v33, v103, v32 offset:144
	ds_bpermute_b32 v34, v103, v34 offset:64
	;; [unrolled: 5-line block ×4, first 2 shown]
	s_and_saveexec_b64 s[6:7], s[0:1]
	s_cbranch_execz .LBB59_7
; %bb.43:                               ;   in Loop: Header=BB59_8 Depth=1
	s_waitcnt lgkmcnt(7)
	v_add_f32_e32 v2, v48, v49
	s_waitcnt lgkmcnt(6)
	v_add_f32_e32 v2, v2, v50
	v_mul_f32_e32 v2, s15, v2
	v_mul_f32_e32 v2, s28, v2
	v_and_b32_e32 v3, 0x7f800000, v2
	v_cmp_ne_u32_e32 vcc, s31, v3
                                        ; implicit-def: $vgpr5
	s_and_saveexec_b64 s[4:5], vcc
	s_xor_b64 s[4:5], exec, s[4:5]
; %bb.44:                               ;   in Loop: Header=BB59_8 Depth=1
	v_bfe_u32 v3, v2, 16, 1
	v_add3_u32 v5, v2, v3, s33
                                        ; implicit-def: $vgpr2
; %bb.45:                               ;   in Loop: Header=BB59_8 Depth=1
	s_andn2_saveexec_b64 s[4:5], s[4:5]
; %bb.46:                               ;   in Loop: Header=BB59_8 Depth=1
	v_or_b32_e32 v3, 0x10000, v2
	v_cmp_eq_u32_sdwa vcc, v2, v99 src0_sel:WORD_0 src1_sel:DWORD
	s_nop 1
	v_cndmask_b32_e32 v5, v3, v2, vcc
; %bb.47:                               ;   in Loop: Header=BB59_8 Depth=1
	s_or_b64 exec, exec, s[4:5]
	v_mov_b32_e32 v97, v99
	v_lshl_add_u64 v[2:3], v[96:97], 1, s[18:19]
	v_cmp_gt_u32_e32 vcc, s14, v104
	global_store_short_d16_hi v[2:3], v5, off
	s_and_saveexec_b64 s[8:9], vcc
	s_cbranch_execz .LBB59_53
; %bb.48:                               ;   in Loop: Header=BB59_8 Depth=1
	s_waitcnt lgkmcnt(5)
	v_add_f32_e32 v5, v32, v33
	s_waitcnt lgkmcnt(4)
	v_add_f32_e32 v5, v5, v34
	v_mul_f32_e32 v5, s15, v5
	v_mul_f32_e32 v5, s28, v5
	v_and_b32_e32 v6, 0x7f800000, v5
	v_cmp_ne_u32_e64 s[4:5], s31, v6
                                        ; implicit-def: $vgpr6
	s_and_saveexec_b64 s[24:25], s[4:5]
	s_xor_b64 s[4:5], exec, s[24:25]
; %bb.49:                               ;   in Loop: Header=BB59_8 Depth=1
	v_bfe_u32 v6, v5, 16, 1
	v_add3_u32 v6, v5, v6, s33
                                        ; implicit-def: $vgpr5
; %bb.50:                               ;   in Loop: Header=BB59_8 Depth=1
	s_andn2_saveexec_b64 s[24:25], s[4:5]
; %bb.51:                               ;   in Loop: Header=BB59_8 Depth=1
	v_or_b32_e32 v6, 0x10000, v5
	v_cmp_eq_u32_sdwa s[4:5], v5, v99 src0_sel:WORD_0 src1_sel:DWORD
	s_nop 1
	v_cndmask_b32_e64 v6, v6, v5, s[4:5]
; %bb.52:                               ;   in Loop: Header=BB59_8 Depth=1
	s_or_b64 exec, exec, s[24:25]
	global_store_short_d16_hi v[2:3], v6, off offset:2
.LBB59_53:                              ;   in Loop: Header=BB59_8 Depth=1
	s_or_b64 exec, exec, s[8:9]
	s_waitcnt lgkmcnt(3)
	v_add_f32_e32 v2, v16, v17
	s_waitcnt lgkmcnt(2)
	v_add_f32_e32 v2, v2, v18
	v_mul_f32_e32 v2, s15, v2
	v_mul_f32_e32 v3, s28, v2
	v_and_b32_e32 v2, 0x7f800000, v3
	v_cmp_ne_u32_e64 s[4:5], s31, v2
                                        ; implicit-def: $vgpr2
	s_and_saveexec_b64 s[8:9], s[4:5]
	s_xor_b64 s[4:5], exec, s[8:9]
; %bb.54:                               ;   in Loop: Header=BB59_8 Depth=1
	v_bfe_u32 v2, v3, 16, 1
	v_add3_u32 v2, v3, v2, s33
                                        ; implicit-def: $vgpr3
; %bb.55:                               ;   in Loop: Header=BB59_8 Depth=1
	s_andn2_saveexec_b64 s[8:9], s[4:5]
; %bb.56:                               ;   in Loop: Header=BB59_8 Depth=1
	v_or_b32_e32 v2, 0x10000, v3
	v_cmp_eq_u32_sdwa s[4:5], v3, v99 src0_sel:WORD_0 src1_sel:DWORD
	s_nop 1
	v_cndmask_b32_e64 v2, v2, v3, s[4:5]
; %bb.57:                               ;   in Loop: Header=BB59_8 Depth=1
	s_or_b64 exec, exec, s[8:9]
	v_add_u32_e32 v98, s14, v96
	v_lshl_add_u64 v[6:7], v[98:99], 1, s[18:19]
	global_store_short_d16_hi v[6:7], v2, off
	s_and_b64 exec, exec, vcc
	s_cbranch_execz .LBB59_7
; %bb.58:                               ;   in Loop: Header=BB59_8 Depth=1
	s_waitcnt lgkmcnt(1)
	v_add_f32_e32 v0, v0, v1
	s_waitcnt lgkmcnt(0)
	v_add_f32_e32 v0, v0, v4
	v_mul_f32_e32 v0, s15, v0
	v_mul_f32_e32 v1, s28, v0
	v_and_b32_e32 v0, 0x7f800000, v1
	v_cmp_ne_u32_e32 vcc, s31, v0
                                        ; implicit-def: $vgpr0
	s_and_saveexec_b64 s[4:5], vcc
	s_xor_b64 s[4:5], exec, s[4:5]
; %bb.59:                               ;   in Loop: Header=BB59_8 Depth=1
	v_bfe_u32 v0, v1, 16, 1
	v_add3_u32 v0, v1, v0, s33
                                        ; implicit-def: $vgpr1
; %bb.60:                               ;   in Loop: Header=BB59_8 Depth=1
	s_andn2_saveexec_b64 s[4:5], s[4:5]
	s_cbranch_execz .LBB59_6
; %bb.61:                               ;   in Loop: Header=BB59_8 Depth=1
	v_or_b32_e32 v0, 0x10000, v1
	v_cmp_eq_u32_sdwa vcc, v1, v99 src0_sel:WORD_0 src1_sel:DWORD
	s_nop 1
	v_cndmask_b32_e32 v0, v0, v1, vcc
	s_branch .LBB59_6
.LBB59_62:
	s_endpgm
	.section	.rodata,"a",@progbits
	.p2align	6, 0x0
	.amdhsa_kernel _Z13wvSplitKQ_hf_I14__hip_bfloat16N3c1015Float8_e4m3fnuzELi64ELi2ELi16ELi16ELi2ELi2EEviiiPKT0_S5_PT_PKfS9_ii
		.amdhsa_group_segment_fixed_size 65536
		.amdhsa_private_segment_fixed_size 0
		.amdhsa_kernarg_size 64
		.amdhsa_user_sgpr_count 2
		.amdhsa_user_sgpr_dispatch_ptr 0
		.amdhsa_user_sgpr_queue_ptr 0
		.amdhsa_user_sgpr_kernarg_segment_ptr 1
		.amdhsa_user_sgpr_dispatch_id 0
		.amdhsa_user_sgpr_kernarg_preload_length 0
		.amdhsa_user_sgpr_kernarg_preload_offset 0
		.amdhsa_user_sgpr_private_segment_size 0
		.amdhsa_uses_dynamic_stack 0
		.amdhsa_enable_private_segment 0
		.amdhsa_system_sgpr_workgroup_id_x 1
		.amdhsa_system_sgpr_workgroup_id_y 0
		.amdhsa_system_sgpr_workgroup_id_z 0
		.amdhsa_system_sgpr_workgroup_info 0
		.amdhsa_system_vgpr_workitem_id 1
		.amdhsa_next_free_vgpr 106
		.amdhsa_next_free_sgpr 35
		.amdhsa_accum_offset 108
		.amdhsa_reserve_vcc 1
		.amdhsa_float_round_mode_32 0
		.amdhsa_float_round_mode_16_64 0
		.amdhsa_float_denorm_mode_32 3
		.amdhsa_float_denorm_mode_16_64 3
		.amdhsa_dx10_clamp 1
		.amdhsa_ieee_mode 1
		.amdhsa_fp16_overflow 0
		.amdhsa_tg_split 0
		.amdhsa_exception_fp_ieee_invalid_op 0
		.amdhsa_exception_fp_denorm_src 0
		.amdhsa_exception_fp_ieee_div_zero 0
		.amdhsa_exception_fp_ieee_overflow 0
		.amdhsa_exception_fp_ieee_underflow 0
		.amdhsa_exception_fp_ieee_inexact 0
		.amdhsa_exception_int_div_zero 0
	.end_amdhsa_kernel
	.section	.text._Z13wvSplitKQ_hf_I14__hip_bfloat16N3c1015Float8_e4m3fnuzELi64ELi2ELi16ELi16ELi2ELi2EEviiiPKT0_S5_PT_PKfS9_ii,"axG",@progbits,_Z13wvSplitKQ_hf_I14__hip_bfloat16N3c1015Float8_e4m3fnuzELi64ELi2ELi16ELi16ELi2ELi2EEviiiPKT0_S5_PT_PKfS9_ii,comdat
.Lfunc_end59:
	.size	_Z13wvSplitKQ_hf_I14__hip_bfloat16N3c1015Float8_e4m3fnuzELi64ELi2ELi16ELi16ELi2ELi2EEviiiPKT0_S5_PT_PKfS9_ii, .Lfunc_end59-_Z13wvSplitKQ_hf_I14__hip_bfloat16N3c1015Float8_e4m3fnuzELi64ELi2ELi16ELi16ELi2ELi2EEviiiPKT0_S5_PT_PKfS9_ii
                                        ; -- End function
	.section	.AMDGPU.csdata,"",@progbits
; Kernel info:
; codeLenInByte = 2616
; NumSgprs: 41
; NumVgprs: 106
; NumAgprs: 0
; TotalNumVgprs: 106
; ScratchSize: 0
; MemoryBound: 1
; FloatMode: 240
; IeeeMode: 1
; LDSByteSize: 65536 bytes/workgroup (compile time only)
; SGPRBlocks: 5
; VGPRBlocks: 13
; NumSGPRsForWavesPerEU: 41
; NumVGPRsForWavesPerEU: 106
; AccumOffset: 108
; Occupancy: 4
; WaveLimiterHint : 0
; COMPUTE_PGM_RSRC2:SCRATCH_EN: 0
; COMPUTE_PGM_RSRC2:USER_SGPR: 2
; COMPUTE_PGM_RSRC2:TRAP_HANDLER: 0
; COMPUTE_PGM_RSRC2:TGID_X_EN: 1
; COMPUTE_PGM_RSRC2:TGID_Y_EN: 0
; COMPUTE_PGM_RSRC2:TGID_Z_EN: 0
; COMPUTE_PGM_RSRC2:TIDIG_COMP_CNT: 1
; COMPUTE_PGM_RSRC3_GFX90A:ACCUM_OFFSET: 26
; COMPUTE_PGM_RSRC3_GFX90A:TG_SPLIT: 0
	.section	.text._Z17wvSplitKQ_hf_sml_I14__hip_bfloat16N3c1015Float8_e4m3fnuzELi64ELi4ELi16ELi16ELi1ELi3EEviiiPKT0_S5_PT_PKfS9_ii,"axG",@progbits,_Z17wvSplitKQ_hf_sml_I14__hip_bfloat16N3c1015Float8_e4m3fnuzELi64ELi4ELi16ELi16ELi1ELi3EEviiiPKT0_S5_PT_PKfS9_ii,comdat
	.protected	_Z17wvSplitKQ_hf_sml_I14__hip_bfloat16N3c1015Float8_e4m3fnuzELi64ELi4ELi16ELi16ELi1ELi3EEviiiPKT0_S5_PT_PKfS9_ii ; -- Begin function _Z17wvSplitKQ_hf_sml_I14__hip_bfloat16N3c1015Float8_e4m3fnuzELi64ELi4ELi16ELi16ELi1ELi3EEviiiPKT0_S5_PT_PKfS9_ii
	.globl	_Z17wvSplitKQ_hf_sml_I14__hip_bfloat16N3c1015Float8_e4m3fnuzELi64ELi4ELi16ELi16ELi1ELi3EEviiiPKT0_S5_PT_PKfS9_ii
	.p2align	8
	.type	_Z17wvSplitKQ_hf_sml_I14__hip_bfloat16N3c1015Float8_e4m3fnuzELi64ELi4ELi16ELi16ELi1ELi3EEviiiPKT0_S5_PT_PKfS9_ii,@function
_Z17wvSplitKQ_hf_sml_I14__hip_bfloat16N3c1015Float8_e4m3fnuzELi64ELi4ELi16ELi16ELi1ELi3EEviiiPKT0_S5_PT_PKfS9_ii: ; @_Z17wvSplitKQ_hf_sml_I14__hip_bfloat16N3c1015Float8_e4m3fnuzELi64ELi4ELi16ELi16ELi1ELi3EEviiiPKT0_S5_PT_PKfS9_ii
; %bb.0:
	s_load_dwordx4 s[4:7], s[0:1], 0x0
	s_load_dwordx4 s[8:11], s[0:1], 0x28
	v_bfe_u32 v1, v0, 10, 10
	v_and_b32_e32 v0, 0x3ff, v0
	v_lshlrev_b32_e32 v2, 4, v0
	s_waitcnt lgkmcnt(0)
	s_mul_i32 s3, s4, 3
	scratch_store_dword off, v2, off offset:648 ; 4-byte Folded Spill
	v_lshl_add_u32 v2, v1, 10, v2
	s_min_i32 s3, s3, 0x10000
	v_cmp_gt_u32_e32 vcc, s3, v2
	s_and_saveexec_b64 s[12:13], vcc
	s_cbranch_execz .LBB60_3
; %bb.1:
	s_load_dwordx2 s[14:15], s[0:1], 0x18
	s_mov_b64 s[16:17], 0
.LBB60_2:                               ; =>This Inner Loop Header: Depth=1
	s_waitcnt lgkmcnt(0)
	global_load_dwordx4 v[4:7], v2, s[14:15]
	s_waitcnt vmcnt(0)
	ds_write_b128 v2, v[4:7]
	v_add_u32_e32 v2, 0x4000, v2
	v_cmp_le_u32_e32 vcc, s3, v2
	s_or_b64 s[16:17], vcc, s[16:17]
	s_andn2_b64 exec, exec, s[16:17]
	s_cbranch_execnz .LBB60_2
.LBB60_3:
	s_or_b64 exec, exec, s[12:13]
	s_load_dwordx2 s[16:17], s[0:1], 0x38
	s_waitcnt lgkmcnt(0)
	s_barrier
	v_cmp_gt_u32_e32 vcc, s16, v1
	s_and_saveexec_b64 s[12:13], vcc
	s_cbranch_execz .LBB60_64
; %bb.4:
	s_mul_i32 s2, s2, s16
	v_add_u32_e32 v1, s2, v1
	v_lshlrev_b32_e32 v26, 2, v1
	v_cmp_gt_u32_e32 vcc, s6, v26
	s_and_b64 exec, exec, vcc
	s_cbranch_execz .LBB60_64
; %bb.5:
	s_load_dword s7, s[8:9], 0x0
	s_load_dword s24, s[10:11], 0x0
	s_load_dwordx2 s[12:13], s[0:1], 0x10
	s_load_dwordx2 s[14:15], s[0:1], 0x20
	scratch_load_dword v2, off, off offset:648 ; 4-byte Folded Reload
	v_cmp_eq_u32_e64 s[0:1], 0, v0
	s_cmp_lg_u32 s4, 0
	s_cselect_b64 s[2:3], -1, 0
	s_mul_i32 s18, s16, s17
	s_mov_b32 s9, 0
	s_lshl_b32 s25, s18, 2
	s_mul_i32 s18, s18, s5
	s_mov_b32 s8, s5
	s_lshl_b32 s10, s5, 1
	s_mov_b32 s11, s9
	s_mul_i32 s16, s5, 3
	s_mov_b32 s17, s9
	v_mov_b32_e32 v29, 0
	s_mov_b32 s26, 0x7f800000
	s_movk_i32 s27, 0x7fff
	s_waitcnt vmcnt(0)
	v_lshl_add_u32 v0, s4, 1, v2
	scratch_store_dword off, v0, off offset:656 ; 4-byte Folded Spill
	v_add_u32_e32 v0, s4, v2
	scratch_store_dword off, v0, off offset:660 ; 4-byte Folded Spill
	v_mul_lo_u32 v0, s5, v1
	v_lshl_add_u32 v0, v0, 2, v2
	scratch_store_dword off, v0, off offset:652 ; 4-byte Folded Spill
	v_cndmask_b32_e64 v0, 0, 1, s[2:3]
	v_cmp_ne_u32_e64 s[2:3], 1, v0
	v_mbcnt_lo_u32_b32 v0, -1, 0
	v_mbcnt_hi_u32_b32 v0, -1, v0
	v_lshlrev_b32_e32 v0, 2, v0
	s_lshl_b32 s5, s18, 2
	s_mov_b64 s[18:19], 0
	v_and_b32_e32 v0, 0x100, v0
	scratch_store_dword off, v0, off offset:672 ; 4-byte Folded Spill
	s_branch .LBB60_8
.LBB60_6:                               ;   in Loop: Header=BB60_8 Depth=1
	s_or_b64 exec, exec, s[22:23]
	v_add_u32_e32 v28, 3, v28
	v_lshl_add_u64 v[2:3], v[28:29], 1, s[14:15]
	global_store_short_d16_hi v[2:3], v0, off
.LBB60_7:                               ;   in Loop: Header=BB60_8 Depth=1
	s_or_b64 exec, exec, s[20:21]
	scratch_load_dword v0, off, off offset:652 ; 4-byte Folded Reload
	s_waitcnt vmcnt(2)
	v_add_u32_e32 v26, s25, v26
	v_cmp_le_u32_e32 vcc, s6, v26
	s_or_b64 s[18:19], vcc, s[18:19]
	s_waitcnt vmcnt(0)
	v_add_u32_e32 v0, s5, v0
	scratch_store_dword off, v0, off offset:652 ; 4-byte Folded Spill
	s_andn2_b64 exec, exec, s[18:19]
	s_cbranch_execz .LBB60_64
.LBB60_8:                               ; =>This Loop Header: Depth=1
                                        ;     Child Loop BB60_10 Depth 2
	v_mov_b32_e32 v15, v29
	v_mov_b32_e32 v14, v29
	;; [unrolled: 1-line block ×9, first 2 shown]
	s_waitcnt lgkmcnt(0)
	v_mov_b32_e32 v6, v29
	v_mov_b32_e32 v5, v29
	;; [unrolled: 1-line block ×7, first 2 shown]
	scratch_store_dwordx2 off, v[26:27], off offset:664 ; 8-byte Folded Spill
	scratch_store_dwordx4 off, v[0:3], off offset:448 ; 16-byte Folded Spill
	s_nop 0
	scratch_store_dwordx4 off, v[4:7], off offset:464 ; 16-byte Folded Spill
	scratch_store_dwordx4 off, v[8:11], off offset:480 ; 16-byte Folded Spill
	;; [unrolled: 1-line block ×4, first 2 shown]
	s_nop 0
	scratch_store_dwordx4 off, v[4:7], off offset:400 ; 16-byte Folded Spill
	scratch_store_dwordx4 off, v[8:11], off offset:416 ; 16-byte Folded Spill
	scratch_store_dwordx4 off, v[12:15], off offset:432 ; 16-byte Folded Spill
	v_mov_b32_e32 v7, v29
	v_mov_b32_e32 v11, v29
	v_mov_b32_e32 v15, v29
	v_mov_b32_e32 v14, v29
	v_mov_b32_e32 v13, v29
	v_mov_b32_e32 v12, v29
	v_mov_b32_e32 v10, v29
	v_mov_b32_e32 v9, v29
	v_mov_b32_e32 v8, v29
	v_mov_b32_e32 v6, v29
	v_mov_b32_e32 v5, v29
	v_mov_b32_e32 v4, v29
	v_mov_b32_e32 v3, v29
	v_mov_b32_e32 v2, v29
	v_mov_b32_e32 v1, v29
	v_mov_b32_e32 v0, v29
	scratch_store_dwordx4 off, v[0:3], off offset:320 ; 16-byte Folded Spill
	s_nop 0
	scratch_store_dwordx4 off, v[4:7], off offset:336 ; 16-byte Folded Spill
	scratch_store_dwordx4 off, v[8:11], off offset:352 ; 16-byte Folded Spill
	scratch_store_dwordx4 off, v[12:15], off offset:368 ; 16-byte Folded Spill
	v_mov_b32_e32 v7, v29
	v_mov_b32_e32 v11, v29
	v_mov_b32_e32 v15, v29
	v_mov_b32_e32 v14, v29
	v_mov_b32_e32 v13, v29
	v_mov_b32_e32 v12, v29
	v_mov_b32_e32 v10, v29
	v_mov_b32_e32 v9, v29
	v_mov_b32_e32 v8, v29
	v_mov_b32_e32 v6, v29
	v_mov_b32_e32 v5, v29
	v_mov_b32_e32 v4, v29
	v_mov_b32_e32 v3, v29
	v_mov_b32_e32 v2, v29
	v_mov_b32_e32 v1, v29
	v_mov_b32_e32 v0, v29
	scratch_store_dwordx4 off, v[0:3], off offset:256 ; 16-byte Folded Spill
	;; [unrolled: 21-line block ×5, first 2 shown]
	s_nop 0
	scratch_store_dwordx4 off, v[4:7], off offset:80 ; 16-byte Folded Spill
	scratch_store_dwordx4 off, v[8:11], off offset:96 ; 16-byte Folded Spill
	scratch_store_dwordx4 off, v[12:15], off offset:112 ; 16-byte Folded Spill
	v_mov_b32_e32 v7, v29
	v_mov_b32_e32 v11, v29
	;; [unrolled: 1-line block ×16, first 2 shown]
	scratch_store_dwordx4 off, v[0:3], off  ; 16-byte Folded Spill
	s_nop 0
	scratch_store_dwordx4 off, v[4:7], off offset:16 ; 16-byte Folded Spill
	scratch_store_dwordx4 off, v[8:11], off offset:32 ; 16-byte Folded Spill
	;; [unrolled: 1-line block ×3, first 2 shown]
	s_and_b64 vcc, exec, s[2:3]
	v_mov_b32_e32 v79, v29
	v_mov_b32_e32 v78, v29
	;; [unrolled: 1-line block ×65, first 2 shown]
	scratch_store_dwordx2 off, v[82:83], off offset:640 ; 8-byte Folded Spill
	s_cbranch_vccnz .LBB60_15
; %bb.9:                                ;   in Loop: Header=BB60_8 Depth=1
	v_mov_b32_e32 v0, 0
	s_mov_b32 s22, 0
	v_mov_b32_e32 v1, v0
	v_mov_b32_e32 v2, v0
	;; [unrolled: 1-line block ×79, first 2 shown]
	scratch_store_dwordx4 off, v[16:19], off offset:512 ; 16-byte Folded Spill
	s_nop 0
	scratch_store_dwordx4 off, v[20:23], off offset:528 ; 16-byte Folded Spill
	scratch_store_dwordx4 off, v[24:27], off offset:544 ; 16-byte Folded Spill
	;; [unrolled: 1-line block ×3, first 2 shown]
	scratch_store_dwordx4 off, v[16:19], off ; 16-byte Folded Spill
	s_nop 0
	scratch_store_dwordx4 off, v[20:23], off offset:16 ; 16-byte Folded Spill
	scratch_store_dwordx4 off, v[24:27], off offset:32 ; 16-byte Folded Spill
	scratch_store_dwordx4 off, v[28:31], off offset:48 ; 16-byte Folded Spill
	scratch_store_dwordx4 off, v[16:19], off offset:64 ; 16-byte Folded Spill
	s_nop 0
	scratch_store_dwordx4 off, v[20:23], off offset:80 ; 16-byte Folded Spill
	scratch_store_dwordx4 off, v[24:27], off offset:96 ; 16-byte Folded Spill
	scratch_store_dwordx4 off, v[28:31], off offset:112 ; 16-byte Folded Spill
	scratch_store_dwordx4 off, v[16:19], off offset:128 ; 16-byte Folded Spill
	s_nop 0
	scratch_store_dwordx4 off, v[20:23], off offset:144 ; 16-byte Folded Spill
	scratch_store_dwordx4 off, v[24:27], off offset:160 ; 16-byte Folded Spill
	scratch_store_dwordx4 off, v[28:31], off offset:176 ; 16-byte Folded Spill
	scratch_store_dwordx4 off, v[16:19], off offset:192 ; 16-byte Folded Spill
	s_nop 0
	scratch_store_dwordx4 off, v[20:23], off offset:208 ; 16-byte Folded Spill
	scratch_store_dwordx4 off, v[24:27], off offset:224 ; 16-byte Folded Spill
	scratch_store_dwordx4 off, v[28:31], off offset:240 ; 16-byte Folded Spill
	scratch_store_dwordx4 off, v[16:19], off offset:256 ; 16-byte Folded Spill
	s_nop 0
	scratch_store_dwordx4 off, v[20:23], off offset:272 ; 16-byte Folded Spill
	scratch_store_dwordx4 off, v[24:27], off offset:288 ; 16-byte Folded Spill
	scratch_store_dwordx4 off, v[28:31], off offset:304 ; 16-byte Folded Spill
	scratch_store_dwordx4 off, v[16:19], off offset:320 ; 16-byte Folded Spill
	s_nop 0
	scratch_store_dwordx4 off, v[20:23], off offset:336 ; 16-byte Folded Spill
	scratch_store_dwordx4 off, v[24:27], off offset:352 ; 16-byte Folded Spill
	;; [unrolled: 1-line block ×3, first 2 shown]
.LBB60_10:                              ;   Parent Loop BB60_8 Depth=1
                                        ; =>  This Inner Loop Header: Depth=2
	scratch_load_dword v80, off, off offset:648 ; 4-byte Folded Reload
	s_waitcnt vmcnt(0)
	v_add_u32_e32 v109, s22, v80
	v_mov_b64_e32 v[80:81], 0
	v_cmp_gt_u32_e32 vcc, s4, v109
	v_mov_b64_e32 v[82:83], v[80:81]
	v_mov_b64_e32 v[100:101], v[80:81]
	;; [unrolled: 1-line block ×13, first 2 shown]
	s_and_saveexec_b64 s[20:21], vcc
	s_cbranch_execz .LBB60_12
; %bb.11:                               ;   in Loop: Header=BB60_10 Depth=2
	scratch_load_dword v80, off, off offset:652 ; 4-byte Folded Reload
	scratch_load_dwordx2 v[82:83], off, off offset:640 ; 8-byte Folded Reload
	s_waitcnt vmcnt(0)
	v_add_u32_e32 v82, s22, v80
	s_waitcnt lgkmcnt(0)
	v_lshl_add_u64 v[80:81], s[12:13], 0, v[82:83]
	scratch_store_dwordx2 off, v[82:83], off offset:640 ; 8-byte Folded Spill
	global_load_dwordx4 v[96:99], v82, s[12:13] nt
	v_lshl_add_u64 v[82:83], v[80:81], 0, s[8:9]
	v_lshl_add_u64 v[84:85], v[80:81], 0, s[10:11]
	;; [unrolled: 1-line block ×3, first 2 shown]
	global_load_dwordx4 v[92:95], v[82:83], off nt
	global_load_dwordx4 v[88:91], v[84:85], off nt
	ds_read_b128 v[104:107], v109
	global_load_dwordx4 v[84:87], v[80:81], off nt
	s_nop 0
	scratch_load_dword v80, off, off offset:660 ; 4-byte Folded Reload
	scratch_load_dword v81, off, off offset:656 ; 4-byte Folded Reload
	s_waitcnt vmcnt(1)
	v_add_u32_e32 v80, s22, v80
	s_waitcnt vmcnt(0)
	v_add_u32_e32 v81, s22, v81
	ds_read_b128 v[100:103], v80
	ds_read_b128 v[80:83], v81
.LBB60_12:                              ;   in Loop: Header=BB60_10 Depth=2
	s_or_b64 exec, exec, s[20:21]
	s_waitcnt lgkmcnt(0)
	v_mfma_f32_32x32x16_fp8_fp8 v[48:63], v[104:105], v[92:93], v[48:63]
	s_addk_i32 s22, 0x400
	s_cmp_ge_u32 s22, s4
	v_mfma_f32_32x32x16_fp8_fp8 v[32:47], v[104:105], v[88:89], v[32:47]
	v_mfma_f32_32x32x16_fp8_fp8 v[16:31], v[104:105], v[84:85], v[16:31]
	;; [unrolled: 1-line block ×3, first 2 shown]
	s_nop 7
	s_nop 2
	scratch_store_dwordx4 off, v[48:51], off offset:448 ; 16-byte Folded Spill
	s_nop 0
	scratch_store_dwordx4 off, v[52:55], off offset:464 ; 16-byte Folded Spill
	scratch_store_dwordx4 off, v[56:59], off offset:480 ; 16-byte Folded Spill
	scratch_store_dwordx4 off, v[60:63], off offset:496 ; 16-byte Folded Spill
	v_mfma_f32_32x32x16_fp8_fp8 v[32:47], v[106:107], v[90:91], v[32:47]
	s_nop 7
	s_nop 2
	scratch_store_dwordx4 off, v[32:35], off offset:384 ; 16-byte Folded Spill
	s_nop 0
	scratch_store_dwordx4 off, v[36:39], off offset:400 ; 16-byte Folded Spill
	scratch_store_dwordx4 off, v[40:43], off offset:416 ; 16-byte Folded Spill
	scratch_store_dwordx4 off, v[44:47], off offset:432 ; 16-byte Folded Spill
	v_mfma_f32_32x32x16_fp8_fp8 v[16:31], v[106:107], v[86:87], v[16:31]
	;; [unrolled: 8-line block ×3, first 2 shown]
	scratch_load_dwordx4 v[48:51], off, off offset:320 ; 16-byte Folded Reload
	scratch_load_dwordx4 v[52:55], off, off offset:336 ; 16-byte Folded Reload
	;; [unrolled: 1-line block ×4, first 2 shown]
	v_mfma_f32_32x32x16_fp8_fp8 v[64:79], v[106:107], v[98:99], v[64:79]
	scratch_load_dwordx4 v[104:107], off, off offset:256 ; 16-byte Folded Reload
	scratch_load_dwordx4 v[108:111], off, off offset:272 ; 16-byte Folded Reload
	;; [unrolled: 1-line block ×12, first 2 shown]
	v_mfma_f32_32x32x16_fp8_fp8 v[0:15], v[80:81], v[84:85], v[0:15]
	v_mfma_f32_32x32x16_fp8_fp8 v[0:15], v[82:83], v[86:87], v[0:15]
	s_waitcnt vmcnt(12)
	v_mfma_f32_32x32x16_fp8_fp8 v[48:63], v[100:101], v[96:97], v[48:63]
	s_waitcnt vmcnt(8)
	;; [unrolled: 2-line block ×4, first 2 shown]
	v_mfma_f32_32x32x16_fp8_fp8 v[32:47], v[100:101], v[84:85], v[32:47]
	v_mfma_f32_32x32x16_fp8_fp8 v[48:63], v[102:103], v[98:99], v[48:63]
	s_nop 7
	s_nop 2
	scratch_store_dwordx4 off, v[48:51], off offset:320 ; 16-byte Folded Spill
	s_nop 0
	scratch_store_dwordx4 off, v[52:55], off offset:336 ; 16-byte Folded Spill
	scratch_store_dwordx4 off, v[56:59], off offset:352 ; 16-byte Folded Spill
	scratch_store_dwordx4 off, v[60:63], off offset:368 ; 16-byte Folded Spill
	v_mfma_f32_32x32x16_fp8_fp8 v[104:119], v[102:103], v[94:95], v[104:119]
	s_nop 7
	s_nop 2
	scratch_store_dwordx4 off, v[104:107], off offset:256 ; 16-byte Folded Spill
	s_nop 0
	scratch_store_dwordx4 off, v[108:111], off offset:272 ; 16-byte Folded Spill
	scratch_store_dwordx4 off, v[112:115], off offset:288 ; 16-byte Folded Spill
	scratch_store_dwordx4 off, v[116:119], off offset:304 ; 16-byte Folded Spill
	;; [unrolled: 8-line block ×4, first 2 shown]
	scratch_load_dwordx4 v[32:35], off, off offset:64 ; 16-byte Folded Reload
	s_nop 0
	scratch_load_dwordx4 v[36:39], off, off offset:80 ; 16-byte Folded Reload
	scratch_load_dwordx4 v[40:43], off, off offset:96 ; 16-byte Folded Reload
	;; [unrolled: 1-line block ×3, first 2 shown]
	s_waitcnt vmcnt(0)
	v_mfma_f32_32x32x16_fp8_fp8 v[32:47], v[80:81], v[96:97], v[32:47]
	v_mfma_f32_32x32x16_fp8_fp8 v[32:47], v[82:83], v[98:99], v[32:47]
	s_nop 7
	s_nop 2
	scratch_store_dwordx4 off, v[32:35], off offset:64 ; 16-byte Folded Spill
	s_nop 0
	scratch_store_dwordx4 off, v[36:39], off offset:80 ; 16-byte Folded Spill
	scratch_store_dwordx4 off, v[40:43], off offset:96 ; 16-byte Folded Spill
	scratch_store_dwordx4 off, v[44:47], off offset:112 ; 16-byte Folded Spill
	scratch_load_dwordx4 v[96:99], off, off ; 16-byte Folded Reload
	scratch_load_dwordx4 v[100:103], off, off offset:16 ; 16-byte Folded Reload
	scratch_load_dwordx4 v[104:107], off, off offset:32 ; 16-byte Folded Reload
	;; [unrolled: 1-line block ×3, first 2 shown]
	s_waitcnt vmcnt(0)
	v_mfma_f32_32x32x16_fp8_fp8 v[96:111], v[80:81], v[92:93], v[96:111]
	v_mfma_f32_32x32x16_fp8_fp8 v[96:111], v[82:83], v[94:95], v[96:111]
	s_nop 7
	s_nop 2
	scratch_store_dwordx4 off, v[96:99], off ; 16-byte Folded Spill
	s_nop 0
	scratch_store_dwordx4 off, v[100:103], off offset:16 ; 16-byte Folded Spill
	scratch_store_dwordx4 off, v[104:107], off offset:32 ; 16-byte Folded Spill
	;; [unrolled: 1-line block ×3, first 2 shown]
	scratch_load_dwordx4 v[92:95], off, off offset:512 ; 16-byte Folded Reload
	s_nop 0
	scratch_load_dwordx4 v[96:99], off, off offset:528 ; 16-byte Folded Reload
	scratch_load_dwordx4 v[100:103], off, off offset:544 ; 16-byte Folded Reload
	;; [unrolled: 1-line block ×3, first 2 shown]
	s_waitcnt vmcnt(0)
	v_mfma_f32_32x32x16_fp8_fp8 v[92:107], v[80:81], v[88:89], v[92:107]
	v_mfma_f32_32x32x16_fp8_fp8 v[92:107], v[82:83], v[90:91], v[92:107]
	s_cbranch_scc1 .LBB60_14
; %bb.13:                               ;   in Loop: Header=BB60_10 Depth=2
	s_nop 7
	s_nop 1
	scratch_store_dwordx4 off, v[92:95], off offset:512 ; 16-byte Folded Spill
	s_nop 0
	scratch_store_dwordx4 off, v[96:99], off offset:528 ; 16-byte Folded Spill
	scratch_store_dwordx4 off, v[100:103], off offset:544 ; 16-byte Folded Spill
	scratch_store_dwordx4 off, v[104:107], off offset:560 ; 16-byte Folded Spill
	scratch_load_dwordx4 v[16:19], off, off offset:576 ; 16-byte Folded Reload
	scratch_load_dwordx4 v[20:23], off, off offset:592 ; 16-byte Folded Reload
	;; [unrolled: 1-line block ×12, first 2 shown]
	s_branch .LBB60_10
.LBB60_14:                              ;   in Loop: Header=BB60_8 Depth=1
	scratch_load_dwordx4 v[108:111], off, off offset:576 ; 16-byte Folded Reload
	scratch_load_dwordx4 v[112:115], off, off offset:592 ; 16-byte Folded Reload
	;; [unrolled: 1-line block ×4, first 2 shown]
.LBB60_15:                              ;   in Loop: Header=BB60_8 Depth=1
	scratch_load_dword v82, off, off offset:672 ; 4-byte Folded Reload
	scratch_load_dwordx4 v[36:39], off, off offset:448 ; 16-byte Folded Reload
	scratch_load_dwordx4 v[40:43], off, off offset:464 ; 16-byte Folded Reload
	;; [unrolled: 1-line block ×4, first 2 shown]
	s_waitcnt vmcnt(6)
	;;#ASMSTART
	v_add_f32 v116, v117, v116 row_shl:1 bound_ctrl:0 
	;;#ASMEND
	;;#ASMSTART
	v_add_f32 v108, v109, v108 row_shl:1 bound_ctrl:0 
	;;#ASMEND
	scratch_load_dwordx4 v[20:23], off, off offset:384 ; 16-byte Folded Reload
	scratch_load_dwordx4 v[24:27], off, off offset:400 ; 16-byte Folded Reload
	;; [unrolled: 1-line block ×4, first 2 shown]
	;;#ASMSTART
	v_add_f32 v116, v118, v116 row_shl:2 bound_ctrl:0 
	;;#ASMEND
	;;#ASMSTART
	v_add_f32 v108, v110, v108 row_shl:2 bound_ctrl:0 
	;;#ASMEND
	;; [unrolled: 3-line block ×6, first 2 shown]
	s_nop 0
	;;#ASMSTART
	v_add_f32 v116, v119, v116 row_shl:3 bound_ctrl:0 
	;;#ASMEND
	;;#ASMSTART
	v_add_f32 v108, v111, v108 row_shl:3 bound_ctrl:0 
	;;#ASMEND
	;;#ASMSTART
	v_add_f32 v72, v74, v72 row_shl:2 bound_ctrl:0 
	;;#ASMEND
	;;#ASMSTART
	v_add_f32 v64, v66, v64 row_shl:2 bound_ctrl:0 
	;;#ASMEND
	;;#ASMSTART
	v_add_f32 v100, v102, v100 row_shl:2 bound_ctrl:0 
	;;#ASMEND
	;;#ASMSTART
	v_add_f32 v8, v10, v8 row_shl:2 bound_ctrl:0 
	;;#ASMEND
	s_waitcnt vmcnt(9)
	;;#ASMSTART
	v_add_f32 v116, v120, v116 row_shl:8 bound_ctrl:0 
	;;#ASMEND
	;;#ASMSTART
	v_add_f32 v108, v112, v108 row_shl:8 bound_ctrl:0 
	;;#ASMEND
	;;#ASMSTART
	v_add_f32 v72, v75, v72 row_shl:3 bound_ctrl:0 
	;;#ASMEND
	;;#ASMSTART
	v_add_f32 v64, v67, v64 row_shl:3 bound_ctrl:0 
	;;#ASMEND
	;;#ASMSTART
	v_add_f32 v100, v103, v100 row_shl:3 bound_ctrl:0 
	;;#ASMEND
	;;#ASMSTART
	v_add_f32 v8, v11, v8 row_shl:3 bound_ctrl:0 
	;;#ASMEND
	s_nop 0
	;;#ASMSTART
	v_add_f32 v116, v121, v116 row_shl:9 bound_ctrl:0 
	;;#ASMEND
	;;#ASMSTART
	v_add_f32 v108, v113, v108 row_shl:9 bound_ctrl:0 
	;;#ASMEND
	;;#ASMSTART
	v_add_f32 v72, v76, v72 row_shl:8 bound_ctrl:0 
	;;#ASMEND
	;;#ASMSTART
	v_add_f32 v64, v68, v64 row_shl:8 bound_ctrl:0 
	;;#ASMEND
	;;#ASMSTART
	v_add_f32 v100, v104, v100 row_shl:8 bound_ctrl:0 
	;;#ASMEND
	;;#ASMSTART
	v_add_f32 v8, v12, v8 row_shl:8 bound_ctrl:0 
	;;#ASMEND
	s_nop 0
	;; [unrolled: 19-line block ×3, first 2 shown]
	;;#ASMSTART
	v_add_f32 v116, v123, v116 row_shl:11 bound_ctrl:0 
	;;#ASMEND
	;;#ASMSTART
	v_add_f32 v108, v115, v108 row_shl:11 bound_ctrl:0 
	;;#ASMEND
	;; [unrolled: 3-line block ×8, first 2 shown]
	s_nop 0
	;;#ASMSTART
	v_add_f32 v72, v79, v72 row_shl:11 bound_ctrl:0 
	;;#ASMEND
	;;#ASMSTART
	v_add_f32 v64, v71, v64 row_shl:11 bound_ctrl:0 
	;;#ASMEND
	;; [unrolled: 3-line block ×6, first 2 shown]
	s_waitcnt vmcnt(5)
	;;#ASMSTART
	v_add_f32 v44, v45, v44 row_shl:1 bound_ctrl:0 
	;;#ASMEND
	ds_bpermute_b32 v17, v82, v116 offset:208
	;;#ASMSTART
	v_add_f32 v44, v46, v44 row_shl:2 bound_ctrl:0 
	;;#ASMEND
	s_waitcnt vmcnt(1)
	;;#ASMSTART
	v_add_f32 v28, v29, v28 row_shl:1 bound_ctrl:0 
	;;#ASMEND
	;;#ASMSTART
	v_add_f32 v36, v37, v36 row_shl:1 bound_ctrl:0 
	;;#ASMEND
	;; [unrolled: 3-line block ×3, first 2 shown]
	s_waitcnt lgkmcnt(0)
	v_add_f32_e32 v17, v116, v17
	;;#ASMSTART
	v_add_f32 v44, v47, v44 row_shl:3 bound_ctrl:0 
	;;#ASMEND
	;;#ASMSTART
	v_add_f32 v28, v30, v28 row_shl:2 bound_ctrl:0 
	;;#ASMEND
	;; [unrolled: 3-line block ×3, first 2 shown]
	ds_bpermute_b32 v65, v82, v72 offset:208
	;;#ASMSTART
	v_add_f32 v44, v48, v44 row_shl:8 bound_ctrl:0 
	;;#ASMEND
	v_mov_b32_e32 v48, v108
	scratch_load_dwordx4 v[108:111], off, off offset:320 ; 16-byte Folded Reload
	scratch_load_dwordx4 v[112:115], off, off offset:336 ; 16-byte Folded Reload
	;; [unrolled: 1-line block ×4, first 2 shown]
	;;#ASMSTART
	v_add_f32 v28, v31, v28 row_shl:3 bound_ctrl:0 
	;;#ASMEND
	;;#ASMSTART
	v_add_f32 v36, v39, v36 row_shl:3 bound_ctrl:0 
	;;#ASMEND
	;; [unrolled: 3-line block ×3, first 2 shown]
	s_waitcnt lgkmcnt(0)
	v_add_f32_e32 v65, v72, v65
	s_waitcnt vmcnt(4)
	;;#ASMSTART
	v_add_f32 v28, v32, v28 row_shl:8 bound_ctrl:0 
	;;#ASMEND
	;;#ASMSTART
	v_add_f32 v36, v40, v36 row_shl:8 bound_ctrl:0 
	;;#ASMEND
	;;#ASMSTART
	v_add_f32 v20, v23, v20 row_shl:3 bound_ctrl:0 
	;;#ASMEND
	;;#ASMSTART
	v_add_f32 v44, v49, v44 row_shl:9 bound_ctrl:0 
	;;#ASMEND
	ds_bpermute_b32 v1, v82, v8 offset:208
	;;#ASMSTART
	v_add_f32 v28, v33, v28 row_shl:9 bound_ctrl:0 
	;;#ASMEND
	;;#ASMSTART
	v_add_f32 v36, v41, v36 row_shl:9 bound_ctrl:0 
	;;#ASMEND
	;;#ASMSTART
	v_add_f32 v20, v24, v20 row_shl:8 bound_ctrl:0 
	;;#ASMEND
	;;#ASMSTART
	v_add_f32 v44, v50, v44 row_shl:10 bound_ctrl:0 
	;;#ASMEND
	ds_bpermute_b32 v24, v82, v100 offset:208
	;; [unrolled: 13-line block ×3, first 2 shown]
	;;#ASMSTART
	v_add_f32 v28, v35, v28 row_shl:11 bound_ctrl:0 
	;;#ASMEND
	ds_bpermute_b32 v33, v82, v28 offset:208
	;;#ASMSTART
	v_add_f32 v36, v43, v36 row_shl:11 bound_ctrl:0 
	;;#ASMEND
	;;#ASMSTART
	v_add_f32 v20, v26, v20 row_shl:10 bound_ctrl:0 
	;;#ASMEND
	s_waitcnt lgkmcnt(1)
	v_add_f32_e32 v49, v44, v49
	;;#ASMSTART
	v_add_f32 v20, v27, v20 row_shl:11 bound_ctrl:0 
	;;#ASMEND
	s_waitcnt lgkmcnt(0)
	v_add_f32_e32 v33, v28, v33
	ds_bpermute_b32 v16, v82, v33 offset:64
	v_mov_b32_e32 v52, v36
	v_mov_b32_e32 v50, v20
	;;#ASMSTART
	v_add_f32 v92, v95, v92 row_shl:3 bound_ctrl:0 
	;;#ASMEND
	;;#ASMSTART
	v_add_f32 v0, v3, v0 row_shl:3 bound_ctrl:0 
	;;#ASMEND
	v_add_f32_e32 v24, v100, v24
	;;#ASMSTART
	v_add_f32 v92, v96, v92 row_shl:8 bound_ctrl:0 
	;;#ASMEND
	;;#ASMSTART
	v_add_f32 v0, v4, v0 row_shl:8 bound_ctrl:0 
	;;#ASMEND
	v_add_f32_e32 v1, v8, v1
	;;#ASMSTART
	v_add_f32 v92, v97, v92 row_shl:9 bound_ctrl:0 
	;;#ASMEND
	;;#ASMSTART
	v_add_f32 v0, v5, v0 row_shl:9 bound_ctrl:0 
	;;#ASMEND
	ds_bpermute_b32 v65, v82, v65 offset:64
	;;#ASMSTART
	v_add_f32 v92, v98, v92 row_shl:10 bound_ctrl:0 
	;;#ASMEND
	;;#ASMSTART
	v_add_f32 v0, v6, v0 row_shl:10 bound_ctrl:0 
	;;#ASMEND
	ds_bpermute_b32 v49, v82, v49 offset:64
	ds_bpermute_b32 v17, v82, v17 offset:64
	;;#ASMSTART
	v_add_f32 v92, v99, v92 row_shl:11 bound_ctrl:0 
	;;#ASMEND
	ds_bpermute_b32 v24, v82, v24 offset:64
	;;#ASMSTART
	v_add_f32 v0, v7, v0 row_shl:11 bound_ctrl:0 
	;;#ASMEND
	ds_bpermute_b32 v1, v82, v1 offset:64
	ds_bpermute_b32 v3, v82, v64 offset:144
	;; [unrolled: 1-line block ×7, first 2 shown]
	s_waitcnt vmcnt(1)
	;;#ASMSTART
	v_add_f32 v116, v117, v116 row_shl:1 bound_ctrl:0 
	;;#ASMEND
	s_nop 0
	;;#ASMSTART
	v_add_f32 v116, v118, v116 row_shl:2 bound_ctrl:0 
	;;#ASMEND
	;;#ASMSTART
	v_add_f32 v108, v109, v108 row_shl:1 bound_ctrl:0 
	;;#ASMEND
	s_nop 0
	;;#ASMSTART
	v_add_f32 v116, v119, v116 row_shl:3 bound_ctrl:0 
	;;#ASMEND
	;;#ASMSTART
	v_add_f32 v108, v110, v108 row_shl:2 bound_ctrl:0 
	;;#ASMEND
	s_waitcnt vmcnt(0)
	;;#ASMSTART
	v_add_f32 v116, v120, v116 row_shl:8 bound_ctrl:0 
	;;#ASMEND
	;;#ASMSTART
	v_add_f32 v108, v111, v108 row_shl:3 bound_ctrl:0 
	;;#ASMEND
	s_nop 0
	;;#ASMSTART
	v_add_f32 v116, v121, v116 row_shl:9 bound_ctrl:0 
	;;#ASMEND
	;;#ASMSTART
	v_add_f32 v108, v112, v108 row_shl:8 bound_ctrl:0 
	;;#ASMEND
	s_nop 0
	;;#ASMSTART
	v_add_f32 v116, v122, v116 row_shl:10 bound_ctrl:0 
	;;#ASMEND
	;;#ASMSTART
	v_add_f32 v108, v113, v108 row_shl:9 bound_ctrl:0 
	;;#ASMEND
	s_nop 0
	;;#ASMSTART
	v_add_f32 v116, v123, v116 row_shl:11 bound_ctrl:0 
	;;#ASMEND
	ds_bpermute_b32 v18, v82, v116 offset:208
	;;#ASMSTART
	v_add_f32 v108, v114, v108 row_shl:10 bound_ctrl:0 
	;;#ASMEND
	s_waitcnt lgkmcnt(0)
	v_add_f32_e32 v18, v116, v18
	;;#ASMSTART
	v_add_f32 v108, v115, v108 row_shl:11 bound_ctrl:0 
	;;#ASMEND
	scratch_load_dwordx4 v[110:113], off, off offset:256 ; 16-byte Folded Reload
	scratch_load_dwordx4 v[114:117], off, off offset:272 ; 16-byte Folded Reload
	;; [unrolled: 1-line block ×12, first 2 shown]
	ds_bpermute_b32 v18, v82, v18 offset:64
	ds_bpermute_b32 v11, v82, v108 offset:144
	s_waitcnt vmcnt(1)
	;;#ASMSTART
	v_add_f32 v34, v35, v34 row_shl:1 bound_ctrl:0 
	;;#ASMEND
	s_nop 0
	;;#ASMSTART
	v_add_f32 v34, v36, v34 row_shl:2 bound_ctrl:0 
	;;#ASMEND
	;;#ASMSTART
	v_add_f32 v26, v27, v26 row_shl:1 bound_ctrl:0 
	;;#ASMEND
	;; [unrolled: 3-line block ×6, first 2 shown]
	s_nop 0
	;;#ASMSTART
	v_add_f32 v34, v37, v34 row_shl:3 bound_ctrl:0 
	;;#ASMEND
	;;#ASMSTART
	v_add_f32 v26, v28, v26 row_shl:2 bound_ctrl:0 
	;;#ASMEND
	;; [unrolled: 3-line block ×6, first 2 shown]
	s_waitcnt vmcnt(0)
	;;#ASMSTART
	v_add_f32 v34, v38, v34 row_shl:8 bound_ctrl:0 
	;;#ASMEND
	;;#ASMSTART
	v_add_f32 v26, v29, v26 row_shl:3 bound_ctrl:0 
	;;#ASMEND
	;;#ASMSTART
	v_add_f32 v118, v121, v118 row_shl:3 bound_ctrl:0 
	;;#ASMEND
	;;#ASMSTART
	v_add_f32 v74, v77, v74 row_shl:3 bound_ctrl:0 
	;;#ASMEND
	;;#ASMSTART
	v_add_f32 v110, v113, v110 row_shl:3 bound_ctrl:0 
	;;#ASMEND
	;;#ASMSTART
	v_add_f32 v66, v69, v66 row_shl:3 bound_ctrl:0 
	;;#ASMEND
	s_nop 0
	;;#ASMSTART
	v_add_f32 v34, v39, v34 row_shl:9 bound_ctrl:0 
	;;#ASMEND
	;;#ASMSTART
	v_add_f32 v26, v30, v26 row_shl:8 bound_ctrl:0 
	;;#ASMEND
	;;#ASMSTART
	v_add_f32 v118, v122, v118 row_shl:8 bound_ctrl:0 
	;;#ASMEND
	;;#ASMSTART
	v_add_f32 v74, v78, v74 row_shl:8 bound_ctrl:0 
	;;#ASMEND
	;;#ASMSTART
	v_add_f32 v110, v114, v110 row_shl:8 bound_ctrl:0 
	;;#ASMEND
	;;#ASMSTART
	v_add_f32 v66, v70, v66 row_shl:8 bound_ctrl:0 
	;;#ASMEND
	s_nop 0
	;; [unrolled: 19-line block ×3, first 2 shown]
	;;#ASMSTART
	v_add_f32 v34, v41, v34 row_shl:11 bound_ctrl:0 
	;;#ASMEND
	ds_bpermute_b32 v21, v82, v34 offset:208
	;;#ASMSTART
	v_add_f32 v26, v32, v26 row_shl:10 bound_ctrl:0 
	;;#ASMEND
	;;#ASMSTART
	v_add_f32 v118, v124, v118 row_shl:10 bound_ctrl:0 
	;;#ASMEND
	;; [unrolled: 3-line block ×4, first 2 shown]
	s_waitcnt lgkmcnt(0)
	v_add_f32_e32 v21, v34, v21
	;;#ASMSTART
	v_add_f32 v26, v33, v26 row_shl:11 bound_ctrl:0 
	;;#ASMEND
	scratch_load_dwordx4 v[30:33], off, off offset:64 ; 16-byte Folded Reload
	scratch_load_dwordx4 v[34:37], off, off offset:80 ; 16-byte Folded Reload
	scratch_load_dwordx4 v[38:41], off, off offset:96 ; 16-byte Folded Reload
	scratch_load_dwordx4 v[42:45], off, off offset:112 ; 16-byte Folded Reload
	;;#ASMSTART
	v_add_f32 v118, v125, v118 row_shl:11 bound_ctrl:0 
	;;#ASMEND
	ds_bpermute_b32 v19, v82, v118 offset:208
	;;#ASMSTART
	v_add_f32 v74, v81, v74 row_shl:11 bound_ctrl:0 
	;;#ASMEND
	ds_bpermute_b32 v20, v82, v74 offset:208
	;;#ASMSTART
	v_add_f32 v66, v72, v66 row_shl:10 bound_ctrl:0 
	;;#ASMEND
	;;#ASMSTART
	v_add_f32 v110, v117, v110 row_shl:11 bound_ctrl:0 
	;;#ASMEND
	s_waitcnt lgkmcnt(1)
	v_add_f32_e32 v19, v118, v19
	ds_bpermute_b32 v19, v82, v19 offset:64
	s_waitcnt lgkmcnt(1)
	v_add_f32_e32 v20, v74, v20
	;;#ASMSTART
	v_add_f32 v66, v73, v66 row_shl:11 bound_ctrl:0 
	;;#ASMEND
	ds_bpermute_b32 v20, v82, v20 offset:64
	ds_bpermute_b32 v21, v82, v21 offset:64
	;; [unrolled: 1-line block ×5, first 2 shown]
	s_waitcnt vmcnt(1)
	;;#ASMSTART
	v_add_f32 v38, v39, v38 row_shl:1 bound_ctrl:0 
	;;#ASMEND
	s_nop 0
	;;#ASMSTART
	v_add_f32 v38, v40, v38 row_shl:2 bound_ctrl:0 
	;;#ASMEND
	;;#ASMSTART
	v_add_f32 v30, v31, v30 row_shl:1 bound_ctrl:0 
	;;#ASMEND
	s_nop 0
	;;#ASMSTART
	v_add_f32 v38, v41, v38 row_shl:3 bound_ctrl:0 
	;;#ASMEND
	;;#ASMSTART
	v_add_f32 v30, v32, v30 row_shl:2 bound_ctrl:0 
	;;#ASMEND
	s_waitcnt vmcnt(0)
	;;#ASMSTART
	v_add_f32 v38, v42, v38 row_shl:8 bound_ctrl:0 
	;;#ASMEND
	;;#ASMSTART
	v_add_f32 v30, v33, v30 row_shl:3 bound_ctrl:0 
	;;#ASMEND
	s_nop 0
	;;#ASMSTART
	v_add_f32 v38, v43, v38 row_shl:9 bound_ctrl:0 
	;;#ASMEND
	;;#ASMSTART
	v_add_f32 v30, v34, v30 row_shl:8 bound_ctrl:0 
	;;#ASMEND
	s_nop 0
	;; [unrolled: 7-line block ×3, first 2 shown]
	;;#ASMSTART
	v_add_f32 v38, v45, v38 row_shl:11 bound_ctrl:0 
	;;#ASMEND
	ds_bpermute_b32 v22, v82, v38 offset:208
	;;#ASMSTART
	v_add_f32 v30, v36, v30 row_shl:10 bound_ctrl:0 
	;;#ASMEND
	s_waitcnt lgkmcnt(0)
	v_add_f32_e32 v22, v38, v22
	;;#ASMSTART
	v_add_f32 v30, v37, v30 row_shl:11 bound_ctrl:0 
	;;#ASMEND
	scratch_load_dwordx4 v[32:35], off, off ; 16-byte Folded Reload
	scratch_load_dwordx4 v[36:39], off, off offset:16 ; 16-byte Folded Reload
	scratch_load_dwordx4 v[40:43], off, off offset:32 ; 16-byte Folded Reload
	;; [unrolled: 1-line block ×3, first 2 shown]
	ds_bpermute_b32 v22, v82, v22 offset:64
	ds_bpermute_b32 v7, v82, v30 offset:144
	s_waitcnt vmcnt(1)
	;;#ASMSTART
	v_add_f32 v40, v41, v40 row_shl:1 bound_ctrl:0 
	;;#ASMEND
	s_nop 0
	;;#ASMSTART
	v_add_f32 v40, v42, v40 row_shl:2 bound_ctrl:0 
	;;#ASMEND
	;;#ASMSTART
	v_add_f32 v32, v33, v32 row_shl:1 bound_ctrl:0 
	;;#ASMEND
	s_nop 0
	;;#ASMSTART
	v_add_f32 v40, v43, v40 row_shl:3 bound_ctrl:0 
	;;#ASMEND
	;;#ASMSTART
	v_add_f32 v32, v34, v32 row_shl:2 bound_ctrl:0 
	;;#ASMEND
	v_mov_b32_e32 v34, v26
	s_waitcnt vmcnt(0)
	;;#ASMSTART
	v_add_f32 v40, v44, v40 row_shl:8 bound_ctrl:0 
	;;#ASMEND
	;;#ASMSTART
	v_add_f32 v32, v35, v32 row_shl:3 bound_ctrl:0 
	;;#ASMEND
	s_nop 0
	;;#ASMSTART
	v_add_f32 v40, v45, v40 row_shl:9 bound_ctrl:0 
	;;#ASMEND
	;;#ASMSTART
	v_add_f32 v32, v36, v32 row_shl:8 bound_ctrl:0 
	;;#ASMEND
	v_mov_b32_e32 v36, v110
	;;#ASMSTART
	v_add_f32 v40, v46, v40 row_shl:10 bound_ctrl:0 
	;;#ASMEND
	;;#ASMSTART
	v_add_f32 v32, v37, v32 row_shl:9 bound_ctrl:0 
	;;#ASMEND
	s_nop 0
	;;#ASMSTART
	v_add_f32 v40, v47, v40 row_shl:11 bound_ctrl:0 
	;;#ASMEND
	ds_bpermute_b32 v23, v82, v40 offset:208
	;;#ASMSTART
	v_add_f32 v32, v38, v32 row_shl:10 bound_ctrl:0 
	;;#ASMEND
	s_waitcnt lgkmcnt(0)
	v_add_f32_e32 v23, v40, v23
	;;#ASMSTART
	v_add_f32 v32, v39, v32 row_shl:11 bound_ctrl:0 
	;;#ASMEND
	ds_bpermute_b32 v23, v82, v23 offset:64
	ds_bpermute_b32 v6, v82, v32 offset:144
	s_mov_b64 s[20:21], exec
	scratch_load_dwordx2 v[26:27], off, off offset:664 ; 8-byte Folded Reload
	scratch_load_dwordx2 v[28:29], off, off offset:640 ; 8-byte Folded Reload
	s_and_b64 s[22:23], s[20:21], s[0:1]
	s_mov_b64 exec, s[22:23]
	s_cbranch_execz .LBB60_7
; %bb.16:                               ;   in Loop: Header=BB60_8 Depth=1
	v_add_f32_e32 v3, v64, v3
	v_add_f32_e32 v3, v3, v65
	v_mul_f32_e32 v3, s7, v3
	v_mul_f32_e32 v3, s24, v3
	v_and_b32_e32 v14, 0x7f800000, v3
	v_cmp_ne_u32_e32 vcc, s26, v14
                                        ; implicit-def: $vgpr14
	s_and_saveexec_b64 s[22:23], vcc
	s_xor_b64 s[22:23], exec, s[22:23]
; %bb.17:                               ;   in Loop: Header=BB60_8 Depth=1
	v_bfe_u32 v14, v3, 16, 1
	v_add3_u32 v14, v3, v14, s27
                                        ; implicit-def: $vgpr3
; %bb.18:                               ;   in Loop: Header=BB60_8 Depth=1
	s_andn2_saveexec_b64 s[22:23], s[22:23]
	s_cbranch_execz .LBB60_20
; %bb.19:                               ;   in Loop: Header=BB60_8 Depth=1
	v_or_b32_e32 v14, 0x10000, v3
	s_waitcnt vmcnt(0)
	v_cmp_eq_u32_sdwa vcc, v3, v29 src0_sel:WORD_0 src1_sel:DWORD
	s_nop 1
	v_cndmask_b32_e32 v14, v14, v3, vcc
.LBB60_20:                              ;   in Loop: Header=BB60_8 Depth=1
	s_or_b64 exec, exec, s[22:23]
	v_add_f32_e32 v2, v52, v2
	s_waitcnt vmcnt(0)
	v_mov_b32_e32 v27, v29
	v_add_f32_e32 v15, v2, v49
	v_lshl_add_u64 v[2:3], v[26:27], 1, s[14:15]
	global_store_short_d16_hi v[2:3], v14, off
	v_mul_f32_e32 v14, s7, v15
	v_mul_f32_e32 v14, s24, v14
	v_and_b32_e32 v15, 0x7f800000, v14
	v_cmp_ne_u32_e32 vcc, s26, v15
                                        ; implicit-def: $vgpr15
	s_and_saveexec_b64 s[22:23], vcc
	s_xor_b64 s[22:23], exec, s[22:23]
; %bb.21:                               ;   in Loop: Header=BB60_8 Depth=1
	v_bfe_u32 v15, v14, 16, 1
	v_add3_u32 v15, v14, v15, s27
                                        ; implicit-def: $vgpr14
; %bb.22:                               ;   in Loop: Header=BB60_8 Depth=1
	s_andn2_saveexec_b64 s[22:23], s[22:23]
; %bb.23:                               ;   in Loop: Header=BB60_8 Depth=1
	v_or_b32_e32 v15, 0x10000, v14
	v_cmp_eq_u32_sdwa vcc, v14, v29 src0_sel:WORD_0 src1_sel:DWORD
	s_nop 1
	v_cndmask_b32_e32 v15, v15, v14, vcc
; %bb.24:                               ;   in Loop: Header=BB60_8 Depth=1
	s_or_b64 exec, exec, s[22:23]
	v_add_f32_e32 v13, v50, v13
	v_add_f32_e32 v13, v13, v16
	v_mul_f32_e32 v13, s7, v13
	v_mul_f32_e32 v13, s24, v13
	v_and_b32_e32 v14, 0x7f800000, v13
	v_cmp_ne_u32_e32 vcc, s26, v14
	global_store_short_d16_hi v[2:3], v15, off offset:2
                                        ; implicit-def: $vgpr14
	s_and_saveexec_b64 s[22:23], vcc
	s_xor_b64 s[22:23], exec, s[22:23]
; %bb.25:                               ;   in Loop: Header=BB60_8 Depth=1
	v_bfe_u32 v14, v13, 16, 1
	v_add3_u32 v14, v13, v14, s27
                                        ; implicit-def: $vgpr13
; %bb.26:                               ;   in Loop: Header=BB60_8 Depth=1
	s_andn2_saveexec_b64 s[22:23], s[22:23]
; %bb.27:                               ;   in Loop: Header=BB60_8 Depth=1
	v_or_b32_e32 v14, 0x10000, v13
	v_cmp_eq_u32_sdwa vcc, v13, v29 src0_sel:WORD_0 src1_sel:DWORD
	s_nop 1
	v_cndmask_b32_e32 v14, v14, v13, vcc
; %bb.28:                               ;   in Loop: Header=BB60_8 Depth=1
	s_or_b64 exec, exec, s[22:23]
	v_add_f32_e32 v12, v48, v12
	v_add_f32_e32 v12, v12, v17
	v_mul_f32_e32 v12, s7, v12
	v_mul_f32_e32 v12, s24, v12
	v_and_b32_e32 v13, 0x7f800000, v12
	v_cmp_ne_u32_e32 vcc, s26, v13
	global_store_short_d16_hi v[2:3], v14, off offset:4
                                        ; implicit-def: $vgpr13
	s_and_saveexec_b64 s[22:23], vcc
	s_xor_b64 s[22:23], exec, s[22:23]
; %bb.29:                               ;   in Loop: Header=BB60_8 Depth=1
	v_bfe_u32 v13, v12, 16, 1
	v_add3_u32 v13, v12, v13, s27
                                        ; implicit-def: $vgpr12
; %bb.30:                               ;   in Loop: Header=BB60_8 Depth=1
	s_andn2_saveexec_b64 s[22:23], s[22:23]
; %bb.31:                               ;   in Loop: Header=BB60_8 Depth=1
	v_or_b32_e32 v13, 0x10000, v12
	v_cmp_eq_u32_sdwa vcc, v12, v29 src0_sel:WORD_0 src1_sel:DWORD
	s_nop 1
	v_cndmask_b32_e32 v13, v13, v12, vcc
; %bb.32:                               ;   in Loop: Header=BB60_8 Depth=1
	s_or_b64 exec, exec, s[22:23]
	v_add_f32_e32 v11, v108, v11
	v_add_f32_e32 v11, v11, v18
	global_store_short_d16_hi v[2:3], v13, off offset:6
	v_mul_f32_e32 v2, s7, v11
	v_mul_f32_e32 v3, s24, v2
	v_and_b32_e32 v2, 0x7f800000, v3
	v_cmp_ne_u32_e32 vcc, s26, v2
                                        ; implicit-def: $vgpr2
	s_and_saveexec_b64 s[22:23], vcc
	s_xor_b64 s[22:23], exec, s[22:23]
; %bb.33:                               ;   in Loop: Header=BB60_8 Depth=1
	v_bfe_u32 v2, v3, 16, 1
	v_add3_u32 v2, v3, v2, s27
                                        ; implicit-def: $vgpr3
; %bb.34:                               ;   in Loop: Header=BB60_8 Depth=1
	s_andn2_saveexec_b64 s[22:23], s[22:23]
; %bb.35:                               ;   in Loop: Header=BB60_8 Depth=1
	v_or_b32_e32 v2, 0x10000, v3
	v_cmp_eq_u32_sdwa vcc, v3, v29 src0_sel:WORD_0 src1_sel:DWORD
	s_nop 1
	v_cndmask_b32_e32 v2, v2, v3, vcc
; %bb.36:                               ;   in Loop: Header=BB60_8 Depth=1
	s_or_b64 exec, exec, s[22:23]
	v_add_u32_e32 v28, s6, v26
	v_add_f32_e32 v3, v36, v10
	v_add_f32_e32 v3, v3, v19
	v_lshl_add_u64 v[10:11], v[28:29], 1, s[14:15]
	global_store_short_d16_hi v[10:11], v2, off
	v_mul_f32_e32 v2, s7, v3
	v_mul_f32_e32 v3, s24, v2
	v_and_b32_e32 v2, 0x7f800000, v3
	v_cmp_ne_u32_e32 vcc, s26, v2
                                        ; implicit-def: $vgpr2
	s_and_saveexec_b64 s[22:23], vcc
	s_xor_b64 s[22:23], exec, s[22:23]
; %bb.37:                               ;   in Loop: Header=BB60_8 Depth=1
	v_bfe_u32 v2, v3, 16, 1
	v_add3_u32 v2, v3, v2, s27
                                        ; implicit-def: $vgpr3
; %bb.38:                               ;   in Loop: Header=BB60_8 Depth=1
	s_andn2_saveexec_b64 s[22:23], s[22:23]
; %bb.39:                               ;   in Loop: Header=BB60_8 Depth=1
	v_or_b32_e32 v2, 0x10000, v3
	v_cmp_eq_u32_sdwa vcc, v3, v29 src0_sel:WORD_0 src1_sel:DWORD
	s_nop 1
	v_cndmask_b32_e32 v2, v2, v3, vcc
; %bb.40:                               ;   in Loop: Header=BB60_8 Depth=1
	s_or_b64 exec, exec, s[22:23]
	v_add_f32_e32 v3, v66, v9
	v_add_u32_e32 v10, 1, v28
	v_mov_b32_e32 v11, v29
	v_add_f32_e32 v3, v3, v20
	v_lshl_add_u64 v[10:11], v[10:11], 1, s[14:15]
	global_store_short_d16_hi v[10:11], v2, off
	v_mul_f32_e32 v2, s7, v3
	v_mul_f32_e32 v3, s24, v2
	v_and_b32_e32 v2, 0x7f800000, v3
	v_cmp_ne_u32_e32 vcc, s26, v2
                                        ; implicit-def: $vgpr2
	s_and_saveexec_b64 s[22:23], vcc
	s_xor_b64 s[22:23], exec, s[22:23]
; %bb.41:                               ;   in Loop: Header=BB60_8 Depth=1
	v_bfe_u32 v2, v3, 16, 1
	v_add3_u32 v2, v3, v2, s27
                                        ; implicit-def: $vgpr3
; %bb.42:                               ;   in Loop: Header=BB60_8 Depth=1
	s_andn2_saveexec_b64 s[22:23], s[22:23]
; %bb.43:                               ;   in Loop: Header=BB60_8 Depth=1
	v_or_b32_e32 v2, 0x10000, v3
	v_cmp_eq_u32_sdwa vcc, v3, v29 src0_sel:WORD_0 src1_sel:DWORD
	s_nop 1
	v_cndmask_b32_e32 v2, v2, v3, vcc
; %bb.44:                               ;   in Loop: Header=BB60_8 Depth=1
	s_or_b64 exec, exec, s[22:23]
	v_add_f32_e32 v3, v34, v8
	v_add_u32_e32 v8, 2, v28
	v_mov_b32_e32 v9, v29
	;; [unrolled: 26-line block ×3, first 2 shown]
	v_add_f32_e32 v3, v3, v22
	v_lshl_add_u64 v[8:9], v[8:9], 1, s[14:15]
	global_store_short_d16_hi v[8:9], v2, off
	v_mul_f32_e32 v2, s7, v3
	v_mul_f32_e32 v2, s24, v2
	v_and_b32_e32 v3, 0x7f800000, v2
	v_cmp_ne_u32_e32 vcc, s26, v3
                                        ; implicit-def: $vgpr7
	s_and_saveexec_b64 s[22:23], vcc
	s_xor_b64 s[22:23], exec, s[22:23]
; %bb.49:                               ;   in Loop: Header=BB60_8 Depth=1
	v_bfe_u32 v3, v2, 16, 1
	v_add3_u32 v7, v2, v3, s27
                                        ; implicit-def: $vgpr2
; %bb.50:                               ;   in Loop: Header=BB60_8 Depth=1
	s_andn2_saveexec_b64 s[22:23], s[22:23]
; %bb.51:                               ;   in Loop: Header=BB60_8 Depth=1
	v_or_b32_e32 v3, 0x10000, v2
	v_cmp_eq_u32_sdwa vcc, v2, v29 src0_sel:WORD_0 src1_sel:DWORD
	s_nop 1
	v_cndmask_b32_e32 v7, v3, v2, vcc
; %bb.52:                               ;   in Loop: Header=BB60_8 Depth=1
	s_or_b64 exec, exec, s[22:23]
	s_waitcnt lgkmcnt(0)
	v_add_f32_e32 v2, v32, v6
	v_add_f32_e32 v6, v2, v23
	v_add_u32_e32 v28, s6, v28
	v_mul_f32_e32 v6, s7, v6
	v_lshl_add_u64 v[2:3], v[28:29], 1, s[14:15]
	v_mul_f32_e32 v6, s24, v6
	global_store_short_d16_hi v[2:3], v7, off
	v_and_b32_e32 v7, 0x7f800000, v6
	v_cmp_ne_u32_e32 vcc, s26, v7
                                        ; implicit-def: $vgpr7
	s_and_saveexec_b64 s[22:23], vcc
	s_xor_b64 s[22:23], exec, s[22:23]
; %bb.53:                               ;   in Loop: Header=BB60_8 Depth=1
	v_bfe_u32 v7, v6, 16, 1
	v_add3_u32 v7, v6, v7, s27
                                        ; implicit-def: $vgpr6
; %bb.54:                               ;   in Loop: Header=BB60_8 Depth=1
	s_andn2_saveexec_b64 s[22:23], s[22:23]
; %bb.55:                               ;   in Loop: Header=BB60_8 Depth=1
	v_or_b32_e32 v7, 0x10000, v6
	v_cmp_eq_u32_sdwa vcc, v6, v29 src0_sel:WORD_0 src1_sel:DWORD
	s_nop 1
	v_cndmask_b32_e32 v7, v7, v6, vcc
; %bb.56:                               ;   in Loop: Header=BB60_8 Depth=1
	s_or_b64 exec, exec, s[22:23]
	v_add_f32_e32 v5, v92, v5
	v_add_f32_e32 v5, v5, v24
	global_store_short_d16_hi v[2:3], v7, off offset:2
	v_mul_f32_e32 v2, s7, v5
	v_mul_f32_e32 v3, s24, v2
	v_and_b32_e32 v2, 0x7f800000, v3
	v_cmp_ne_u32_e32 vcc, s26, v2
                                        ; implicit-def: $vgpr2
	s_and_saveexec_b64 s[22:23], vcc
	s_xor_b64 s[22:23], exec, s[22:23]
; %bb.57:                               ;   in Loop: Header=BB60_8 Depth=1
	v_bfe_u32 v2, v3, 16, 1
	v_add3_u32 v2, v3, v2, s27
                                        ; implicit-def: $vgpr3
; %bb.58:                               ;   in Loop: Header=BB60_8 Depth=1
	s_andn2_saveexec_b64 s[22:23], s[22:23]
; %bb.59:                               ;   in Loop: Header=BB60_8 Depth=1
	v_or_b32_e32 v2, 0x10000, v3
	v_cmp_eq_u32_sdwa vcc, v3, v29 src0_sel:WORD_0 src1_sel:DWORD
	s_nop 1
	v_cndmask_b32_e32 v2, v2, v3, vcc
; %bb.60:                               ;   in Loop: Header=BB60_8 Depth=1
	s_or_b64 exec, exec, s[22:23]
	v_add_f32_e32 v0, v0, v4
	v_add_f32_e32 v3, v0, v1
	v_add_u32_e32 v0, 2, v28
	v_mov_b32_e32 v1, v29
	v_lshl_add_u64 v[0:1], v[0:1], 1, s[14:15]
	global_store_short_d16_hi v[0:1], v2, off
	v_mul_f32_e32 v0, s7, v3
	v_mul_f32_e32 v1, s24, v0
	v_and_b32_e32 v0, 0x7f800000, v1
	v_cmp_ne_u32_e32 vcc, s26, v0
                                        ; implicit-def: $vgpr0
	s_and_saveexec_b64 s[22:23], vcc
	s_xor_b64 s[22:23], exec, s[22:23]
; %bb.61:                               ;   in Loop: Header=BB60_8 Depth=1
	v_bfe_u32 v0, v1, 16, 1
	v_add3_u32 v0, v1, v0, s27
                                        ; implicit-def: $vgpr1
; %bb.62:                               ;   in Loop: Header=BB60_8 Depth=1
	s_andn2_saveexec_b64 s[22:23], s[22:23]
	s_cbranch_execz .LBB60_6
; %bb.63:                               ;   in Loop: Header=BB60_8 Depth=1
	v_or_b32_e32 v0, 0x10000, v1
	v_cmp_eq_u32_sdwa vcc, v1, v29 src0_sel:WORD_0 src1_sel:DWORD
	s_nop 1
	v_cndmask_b32_e32 v0, v0, v1, vcc
	s_branch .LBB60_6
.LBB60_64:
	s_endpgm
	.section	.rodata,"a",@progbits
	.p2align	6, 0x0
	.amdhsa_kernel _Z17wvSplitKQ_hf_sml_I14__hip_bfloat16N3c1015Float8_e4m3fnuzELi64ELi4ELi16ELi16ELi1ELi3EEviiiPKT0_S5_PT_PKfS9_ii
		.amdhsa_group_segment_fixed_size 65536
		.amdhsa_private_segment_fixed_size 680
		.amdhsa_kernarg_size 64
		.amdhsa_user_sgpr_count 2
		.amdhsa_user_sgpr_dispatch_ptr 0
		.amdhsa_user_sgpr_queue_ptr 0
		.amdhsa_user_sgpr_kernarg_segment_ptr 1
		.amdhsa_user_sgpr_dispatch_id 0
		.amdhsa_user_sgpr_kernarg_preload_length 0
		.amdhsa_user_sgpr_kernarg_preload_offset 0
		.amdhsa_user_sgpr_private_segment_size 0
		.amdhsa_uses_dynamic_stack 0
		.amdhsa_enable_private_segment 1
		.amdhsa_system_sgpr_workgroup_id_x 1
		.amdhsa_system_sgpr_workgroup_id_y 0
		.amdhsa_system_sgpr_workgroup_id_z 0
		.amdhsa_system_sgpr_workgroup_info 0
		.amdhsa_system_vgpr_workitem_id 1
		.amdhsa_next_free_vgpr 126
		.amdhsa_next_free_sgpr 28
		.amdhsa_accum_offset 128
		.amdhsa_reserve_vcc 1
		.amdhsa_float_round_mode_32 0
		.amdhsa_float_round_mode_16_64 0
		.amdhsa_float_denorm_mode_32 3
		.amdhsa_float_denorm_mode_16_64 3
		.amdhsa_dx10_clamp 1
		.amdhsa_ieee_mode 1
		.amdhsa_fp16_overflow 0
		.amdhsa_tg_split 0
		.amdhsa_exception_fp_ieee_invalid_op 0
		.amdhsa_exception_fp_denorm_src 0
		.amdhsa_exception_fp_ieee_div_zero 0
		.amdhsa_exception_fp_ieee_overflow 0
		.amdhsa_exception_fp_ieee_underflow 0
		.amdhsa_exception_fp_ieee_inexact 0
		.amdhsa_exception_int_div_zero 0
	.end_amdhsa_kernel
	.section	.text._Z17wvSplitKQ_hf_sml_I14__hip_bfloat16N3c1015Float8_e4m3fnuzELi64ELi4ELi16ELi16ELi1ELi3EEviiiPKT0_S5_PT_PKfS9_ii,"axG",@progbits,_Z17wvSplitKQ_hf_sml_I14__hip_bfloat16N3c1015Float8_e4m3fnuzELi64ELi4ELi16ELi16ELi1ELi3EEviiiPKT0_S5_PT_PKfS9_ii,comdat
.Lfunc_end60:
	.size	_Z17wvSplitKQ_hf_sml_I14__hip_bfloat16N3c1015Float8_e4m3fnuzELi64ELi4ELi16ELi16ELi1ELi3EEviiiPKT0_S5_PT_PKfS9_ii, .Lfunc_end60-_Z17wvSplitKQ_hf_sml_I14__hip_bfloat16N3c1015Float8_e4m3fnuzELi64ELi4ELi16ELi16ELi1ELi3EEviiiPKT0_S5_PT_PKfS9_ii
                                        ; -- End function
	.section	.AMDGPU.csdata,"",@progbits
; Kernel info:
; codeLenInByte = 6792
; NumSgprs: 34
; NumVgprs: 126
; NumAgprs: 0
; TotalNumVgprs: 126
; ScratchSize: 680
; MemoryBound: 1
; FloatMode: 240
; IeeeMode: 1
; LDSByteSize: 65536 bytes/workgroup (compile time only)
; SGPRBlocks: 4
; VGPRBlocks: 15
; NumSGPRsForWavesPerEU: 34
; NumVGPRsForWavesPerEU: 126
; AccumOffset: 128
; Occupancy: 4
; WaveLimiterHint : 0
; COMPUTE_PGM_RSRC2:SCRATCH_EN: 1
; COMPUTE_PGM_RSRC2:USER_SGPR: 2
; COMPUTE_PGM_RSRC2:TRAP_HANDLER: 0
; COMPUTE_PGM_RSRC2:TGID_X_EN: 1
; COMPUTE_PGM_RSRC2:TGID_Y_EN: 0
; COMPUTE_PGM_RSRC2:TGID_Z_EN: 0
; COMPUTE_PGM_RSRC2:TIDIG_COMP_CNT: 1
; COMPUTE_PGM_RSRC3_GFX90A:ACCUM_OFFSET: 31
; COMPUTE_PGM_RSRC3_GFX90A:TG_SPLIT: 0
	.section	.text._Z13wvSplitKQ_hf_I14__hip_bfloat16N3c1015Float8_e4m3fnuzELi64ELi7ELi16ELi16ELi1ELi3EEviiiPKT0_S5_PT_PKfS9_ii,"axG",@progbits,_Z13wvSplitKQ_hf_I14__hip_bfloat16N3c1015Float8_e4m3fnuzELi64ELi7ELi16ELi16ELi1ELi3EEviiiPKT0_S5_PT_PKfS9_ii,comdat
	.protected	_Z13wvSplitKQ_hf_I14__hip_bfloat16N3c1015Float8_e4m3fnuzELi64ELi7ELi16ELi16ELi1ELi3EEviiiPKT0_S5_PT_PKfS9_ii ; -- Begin function _Z13wvSplitKQ_hf_I14__hip_bfloat16N3c1015Float8_e4m3fnuzELi64ELi7ELi16ELi16ELi1ELi3EEviiiPKT0_S5_PT_PKfS9_ii
	.globl	_Z13wvSplitKQ_hf_I14__hip_bfloat16N3c1015Float8_e4m3fnuzELi64ELi7ELi16ELi16ELi1ELi3EEviiiPKT0_S5_PT_PKfS9_ii
	.p2align	8
	.type	_Z13wvSplitKQ_hf_I14__hip_bfloat16N3c1015Float8_e4m3fnuzELi64ELi7ELi16ELi16ELi1ELi3EEviiiPKT0_S5_PT_PKfS9_ii,@function
_Z13wvSplitKQ_hf_I14__hip_bfloat16N3c1015Float8_e4m3fnuzELi64ELi7ELi16ELi16ELi1ELi3EEviiiPKT0_S5_PT_PKfS9_ii: ; @_Z13wvSplitKQ_hf_I14__hip_bfloat16N3c1015Float8_e4m3fnuzELi64ELi7ELi16ELi16ELi1ELi3EEviiiPKT0_S5_PT_PKfS9_ii
; %bb.0:
	s_load_dwordx4 s[20:23], s[0:1], 0x0
	s_load_dwordx2 s[24:25], s[0:1], 0x18
	s_load_dwordx4 s[4:7], s[0:1], 0x28
	v_bfe_u32 v1, v0, 10, 10
	v_and_b32_e32 v0, 0x3ff, v0
	v_lshlrev_b32_e32 v4, 4, v0
	v_mov_b32_e32 v2, v4
	s_waitcnt lgkmcnt(0)
	s_mul_i32 s3, s20, 3
	scratch_store_dwordx2 off, v[2:3], off offset:2592 ; 8-byte Folded Spill
	v_lshl_add_u32 v2, v1, 10, v4
	s_min_i32 s3, s3, 0x10000
	v_cmp_gt_u32_e32 vcc, s3, v2
	s_and_saveexec_b64 s[8:9], vcc
	s_cbranch_execz .LBB61_3
; %bb.1:
	s_mov_b64 s[10:11], 0
.LBB61_2:                               ; =>This Inner Loop Header: Depth=1
	global_load_dwordx4 v[4:7], v2, s[24:25]
	s_waitcnt vmcnt(0)
	ds_write_b128 v2, v[4:7]
	v_add_u32_e32 v2, 0x4000, v2
	v_cmp_le_u32_e32 vcc, s3, v2
	s_or_b64 s[10:11], vcc, s[10:11]
	s_andn2_b64 exec, exec, s[10:11]
	s_cbranch_execnz .LBB61_2
.LBB61_3:
	s_or_b64 exec, exec, s[8:9]
	s_load_dwordx2 s[8:9], s[0:1], 0x38
	s_waitcnt lgkmcnt(0)
	s_barrier
	v_cmp_gt_u32_e32 vcc, s8, v1
	s_and_saveexec_b64 s[10:11], vcc
	s_cbranch_execz .LBB61_139
; %bb.4:
	s_mul_i32 s2, s2, s8
	v_add_u32_e32 v1, s2, v1
	v_mul_lo_u32 v20, v1, 7
	v_cmp_gt_u32_e32 vcc, s22, v20
	s_and_b64 exec, exec, vcc
	s_cbranch_execz .LBB61_139
; %bb.5:
	s_load_dword s23, s[4:5], 0x0
	s_load_dword s33, s[6:7], 0x0
	s_load_dwordx2 s[26:27], s[0:1], 0x10
	s_load_dwordx2 s[28:29], s[0:1], 0x20
	scratch_load_dwordx2 v[2:3], off, off offset:2592 ; 8-byte Folded Reload
	s_mov_b32 s4, 0
	v_cmp_eq_u32_e64 s[0:1], 0, v0
	v_mul_lo_u32 v0, s21, v1
	s_mov_b32 s5, s4
	s_mov_b32 s6, s4
	s_mov_b32 s7, s4
	s_mul_i32 s38, s8, s9
	s_cmp_lg_u32 s20, 0
	s_mul_i32 s38, s38, 7
	s_cselect_b64 s[30:31], -1, 0
	s_lshl_b32 s39, s22, 1
	s_mul_i32 s40, s38, s21
	s_ashr_i32 s35, s21, 31
	s_mov_b32 s34, s21
	s_mov_b64 s[36:37], 0
	s_mov_b32 s21, 0xffff
	s_mov_b32 s41, 0x7f800000
	s_movk_i32 s42, 0x7fff
	s_waitcnt vmcnt(0)
	v_mad_u64_u32 v[0:1], s[2:3], v0, 7, v[2:3]
	scratch_store_dwordx2 off, v[0:1], off offset:2876 ; 8-byte Folded Spill
	v_mov_b64_e32 v[0:1], s[4:5]
	v_mov_b64_e32 v[2:3], s[6:7]
	scratch_store_dwordx4 off, v[0:3], off offset:2884 ; 16-byte Folded Spill
	s_nop 1
	v_mov_b32_e32 v1, 0
	scratch_store_dwordx2 off, v[0:1], off offset:1456 ; 8-byte Folded Spill
	v_mbcnt_lo_u32_b32 v0, -1, 0
	v_mbcnt_hi_u32_b32 v0, -1, v0
	v_lshlrev_b32_e32 v0, 2, v0
	v_and_b32_e32 v22, 0x100, v0
	scratch_store_dword off, v22, off offset:2600 ; 4-byte Folded Spill
	s_branch .LBB61_8
.LBB61_6:                               ;   in Loop: Header=BB61_8 Depth=1
	s_or_b64 exec, exec, s[2:3]
	scratch_load_dwordx2 v[2:3], off, off offset:1456 ; 8-byte Folded Reload
	v_add_u32_e32 v4, s39, v0
	s_waitcnt vmcnt(0)
	v_mov_b32_e32 v5, v3
	scratch_store_dwordx2 off, v[2:3], off offset:1456 ; 8-byte Folded Spill
	v_lshl_add_u64 v[2:3], v[4:5], 1, s[28:29]
	global_store_short_d16_hi v[2:3], v1, off
.LBB61_7:                               ;   in Loop: Header=BB61_8 Depth=1
	s_or_b64 exec, exec, s[6:7]
	scratch_load_dwordx2 v[0:1], off, off offset:2876 ; 8-byte Folded Reload
	v_add_u32_e32 v20, s38, v20
	v_cmp_le_u32_e32 vcc, s22, v20
	s_or_b64 s[36:37], vcc, s[36:37]
	s_waitcnt vmcnt(0)
	v_add_u32_e32 v0, s40, v0
	scratch_store_dwordx2 off, v[0:1], off offset:2876 ; 8-byte Folded Spill
	s_andn2_b64 exec, exec, s[36:37]
	s_cbranch_execz .LBB61_139
.LBB61_8:                               ; =>This Loop Header: Depth=1
                                        ;     Child Loop BB61_12 Depth 2
                                        ;       Child Loop BB61_14 Depth 3
                                        ;     Child Loop BB61_29 Depth 2
                                        ;     Child Loop BB61_31 Depth 2
	;; [unrolled: 1-line block ×3, first 2 shown]
	scratch_load_dwordx4 v[0:3], off, off offset:2884 ; 16-byte Folded Reload
	s_and_b64 vcc, exec, s[30:31]
	s_waitcnt vmcnt(0)
	scratch_store_dwordx4 off, v[0:3], off offset:48
	scratch_store_dwordx4 off, v[0:3], off offset:32
	;; [unrolled: 1-line block ×3, first 2 shown]
	scratch_store_dwordx4 off, v[0:3], off
	scratch_store_dwordx4 off, v[0:3], off offset:496
	scratch_store_dwordx4 off, v[0:3], off offset:480
	;; [unrolled: 1-line block ×80, first 2 shown]
	s_cbranch_vccz .LBB61_28
; %bb.9:                                ;   in Loop: Header=BB61_8 Depth=1
	scratch_store_dwordx2 off, v[20:21], off offset:1592 ; 8-byte Folded Spill
	scratch_load_dwordx2 v[0:1], off, off offset:2876 ; 8-byte Folded Reload
	scratch_load_dwordx2 v[2:3], off, off offset:1456 ; 8-byte Folded Reload
	s_mov_b32 s18, s4
	s_mov_b32 s19, s4
	;; [unrolled: 1-line block ×15, first 2 shown]
	v_mov_b64_e32 v[78:79], s[18:19]
	v_mov_b64_e32 v[76:77], s[16:17]
	;; [unrolled: 1-line block ×8, first 2 shown]
	s_mov_b32 s43, 0
	s_waitcnt vmcnt(0)
	v_mov_b32_e32 v2, v0
	scratch_store_dwordx2 off, v[2:3], off offset:1456 ; 8-byte Folded Spill
	scratch_store_dwordx4 off, v[64:67], off offset:2208 ; 16-byte Folded Spill
	s_nop 0
	scratch_store_dwordx4 off, v[68:71], off offset:2224 ; 16-byte Folded Spill
	scratch_store_dwordx4 off, v[72:75], off offset:2240 ; 16-byte Folded Spill
	scratch_store_dwordx4 off, v[76:79], off offset:2256 ; 16-byte Folded Spill
	scratch_store_dwordx4 off, v[64:67], off offset:2272 ; 16-byte Folded Spill
	s_nop 0
	scratch_store_dwordx4 off, v[68:71], off offset:2288 ; 16-byte Folded Spill
	scratch_store_dwordx4 off, v[72:75], off offset:2304 ; 16-byte Folded Spill
	scratch_store_dwordx4 off, v[76:79], off offset:2320 ; 16-byte Folded Spill
	;; [unrolled: 5-line block ×4, first 2 shown]
	v_mov_b64_e32 v[114:115], v[78:79]
	v_mov_b64_e32 v[32:33], v[64:65]
	;; [unrolled: 1-line block ×32, first 2 shown]
	scratch_store_dwordx4 off, v[64:67], off offset:2464 ; 16-byte Folded Spill
	s_nop 0
	scratch_store_dwordx4 off, v[68:71], off offset:2480 ; 16-byte Folded Spill
	scratch_store_dwordx4 off, v[72:75], off offset:2496 ; 16-byte Folded Spill
	scratch_store_dwordx4 off, v[76:79], off offset:2512 ; 16-byte Folded Spill
	scratch_store_dwordx4 off, v[64:67], off offset:1528 ; 16-byte Folded Spill
	s_nop 0
	scratch_store_dwordx4 off, v[68:71], off offset:1544 ; 16-byte Folded Spill
	scratch_store_dwordx4 off, v[72:75], off offset:1560 ; 16-byte Folded Spill
	scratch_store_dwordx4 off, v[76:79], off offset:1576 ; 16-byte Folded Spill
	;; [unrolled: 5-line block ×13, first 2 shown]
	s_branch .LBB61_12
.LBB61_10:                              ;   in Loop: Header=BB61_12 Depth=2
	s_or_b64 exec, exec, s[6:7]
	scratch_load_dwordx4 v[80:83], off, off offset:1344
	scratch_load_dwordx4 v[96:99], off, off offset:1360
	scratch_load_dwordx4 v[100:103], off, off offset:2080 ; 16-byte Folded Reload
	scratch_load_dwordx4 v[104:107], off, off offset:2096 ; 16-byte Folded Reload
	;; [unrolled: 1-line block ×8, first 2 shown]
	s_waitcnt vmcnt(4) lgkmcnt(0)
	v_mfma_f32_32x32x16_fp8_fp8 v[100:115], v[116:117], v[80:81], v[100:115]
	s_waitcnt vmcnt(0)
	v_mfma_f32_32x32x16_fp8_fp8 v[0:15], v[116:117], v[96:97], v[0:15]
	s_nop 7
	s_nop 2
	scratch_store_dwordx4 off, v[0:3], off offset:1528 ; 16-byte Folded Spill
	s_nop 0
	scratch_store_dwordx4 off, v[4:7], off offset:1544 ; 16-byte Folded Spill
	scratch_store_dwordx4 off, v[8:11], off offset:1560 ; 16-byte Folded Spill
	;; [unrolled: 1-line block ×3, first 2 shown]
	v_mfma_f32_32x32x16_fp8_fp8 v[100:115], v[118:119], v[82:83], v[100:115]
	scratch_load_dwordx4 v[92:95], off, off offset:1376
	scratch_load_dwordx4 v[88:91], off, off offset:1392
	scratch_load_dwordx4 v[48:51], off, off offset:2400 ; 16-byte Folded Reload
	scratch_load_dwordx4 v[52:55], off, off offset:2416 ; 16-byte Folded Reload
	;; [unrolled: 1-line block ×8, first 2 shown]
	scratch_load_dwordx4 v[84:87], off, off offset:1408
	scratch_load_dwordx4 v[120:123], off, off offset:1424
	scratch_load_dwordx4 v[64:67], off, off offset:2272 ; 16-byte Folded Reload
	scratch_load_dwordx4 v[68:71], off, off offset:2288 ; 16-byte Folded Reload
	;; [unrolled: 1-line block ×8, first 2 shown]
	scratch_load_dwordx4 v[124:127], off, off offset:1440
	scratch_load_dwordx4 v[0:3], off, off offset:2144 ; 16-byte Folded Reload
	scratch_load_dwordx4 v[4:7], off, off offset:2160 ; 16-byte Folded Reload
	;; [unrolled: 1-line block ×4, first 2 shown]
	s_nop 0
	scratch_store_dwordx4 off, v[100:103], off offset:2080 ; 16-byte Folded Spill
	s_nop 0
	scratch_store_dwordx4 off, v[104:107], off offset:2096 ; 16-byte Folded Spill
	scratch_store_dwordx4 off, v[108:111], off offset:2112 ; 16-byte Folded Spill
	;; [unrolled: 1-line block ×3, first 2 shown]
	scratch_load_dwordx4 v[100:103], off, off offset:1528 ; 16-byte Folded Reload
	s_nop 0
	scratch_load_dwordx4 v[104:107], off, off offset:1544 ; 16-byte Folded Reload
	scratch_load_dwordx4 v[108:111], off, off offset:1560 ; 16-byte Folded Reload
	;; [unrolled: 1-line block ×3, first 2 shown]
	s_waitcnt vmcnt(27)
	v_mfma_f32_32x32x16_fp8_fp8 v[48:63], v[116:117], v[92:93], v[48:63]
	s_waitcnt vmcnt(0)
	v_mfma_f32_32x32x16_fp8_fp8 v[100:115], v[118:119], v[98:99], v[100:115]
	s_nop 7
	s_nop 2
	scratch_store_dwordx4 off, v[100:103], off offset:1528 ; 16-byte Folded Spill
	s_nop 0
	scratch_store_dwordx4 off, v[104:107], off offset:1544 ; 16-byte Folded Spill
	scratch_store_dwordx4 off, v[108:111], off offset:1560 ; 16-byte Folded Spill
	;; [unrolled: 1-line block ×3, first 2 shown]
	s_nop 0
	v_mov_b64_e32 v[110:111], v[94:95]
	v_mfma_f32_32x32x16_fp8_fp8 v[32:47], v[116:117], v[88:89], v[32:47]
	v_mov_b64_e32 v[114:115], v[86:87]
	v_mov_b64_e32 v[108:109], v[92:93]
	;; [unrolled: 1-line block ×3, first 2 shown]
	v_mfma_f32_32x32x16_fp8_fp8 v[48:63], v[118:119], v[110:111], v[48:63]
	s_nop 7
	s_nop 2
	scratch_store_dwordx4 off, v[48:51], off offset:2400 ; 16-byte Folded Spill
	s_nop 0
	scratch_store_dwordx4 off, v[52:55], off offset:2416 ; 16-byte Folded Spill
	scratch_store_dwordx4 off, v[56:59], off offset:2432 ; 16-byte Folded Spill
	scratch_store_dwordx4 off, v[60:63], off offset:2448 ; 16-byte Folded Spill
	v_mfma_f32_32x32x16_fp8_fp8 v[64:79], v[116:117], v[84:85], v[64:79]
	v_mov_b64_e32 v[52:53], v[88:89]
	v_mov_b64_e32 v[54:55], v[90:91]
	;; [unrolled: 1-line block ×4, first 2 shown]
	v_mfma_f32_32x32x16_fp8_fp8 v[16:31], v[116:117], v[120:121], v[16:31]
	v_mfma_f32_32x32x16_fp8_fp8 v[0:15], v[116:117], v[124:125], v[0:15]
	;; [unrolled: 1-line block ×3, first 2 shown]
	s_nop 7
	s_nop 2
	scratch_store_dwordx4 off, v[32:35], off offset:2336 ; 16-byte Folded Spill
	s_nop 0
	scratch_store_dwordx4 off, v[36:39], off offset:2352 ; 16-byte Folded Spill
	scratch_store_dwordx4 off, v[40:43], off offset:2368 ; 16-byte Folded Spill
	scratch_store_dwordx4 off, v[44:47], off offset:2384 ; 16-byte Folded Spill
	v_mfma_f32_32x32x16_fp8_fp8 v[64:79], v[118:119], v[114:115], v[64:79]
	s_nop 7
	s_nop 2
	scratch_store_dwordx4 off, v[64:67], off offset:2272 ; 16-byte Folded Spill
	s_nop 0
	scratch_store_dwordx4 off, v[68:71], off offset:2288 ; 16-byte Folded Spill
	scratch_store_dwordx4 off, v[72:75], off offset:2304 ; 16-byte Folded Spill
	scratch_store_dwordx4 off, v[76:79], off offset:2320 ; 16-byte Folded Spill
	v_mfma_f32_32x32x16_fp8_fp8 v[16:31], v[118:119], v[122:123], v[16:31]
	;; [unrolled: 8-line block ×3, first 2 shown]
	s_nop 7
	s_nop 2
	scratch_store_dwordx4 off, v[0:3], off offset:2144 ; 16-byte Folded Spill
	s_nop 0
	scratch_store_dwordx4 off, v[4:7], off offset:2160 ; 16-byte Folded Spill
	scratch_store_dwordx4 off, v[8:11], off offset:2176 ; 16-byte Folded Spill
	scratch_store_dwordx4 off, v[12:15], off offset:2192 ; 16-byte Folded Spill
	scratch_load_dwordx4 v[0:3], off, off offset:1792 ; 16-byte Folded Reload
	s_nop 0
	scratch_load_dwordx4 v[4:7], off, off offset:1808 ; 16-byte Folded Reload
	scratch_load_dwordx4 v[8:11], off, off offset:1824 ; 16-byte Folded Reload
	;; [unrolled: 1-line block ×4, first 2 shown]
	v_mov_b64_e32 v[30:31], v[80:81]
	v_mov_b64_e32 v[32:33], v[82:83]
	scratch_store_dwordx4 off, v[30:33], off offset:2860 ; 16-byte Folded Spill
	scratch_load_dwordx4 v[36:39], off, off offset:1728 ; 16-byte Folded Reload
	scratch_load_dwordx4 v[40:43], off, off offset:1744 ; 16-byte Folded Reload
	;; [unrolled: 1-line block ×4, first 2 shown]
	s_waitcnt vmcnt(5)
	v_mfma_f32_32x32x16_fp8_fp8 v[0:15], v[116:117], v[30:31], v[0:15]
	s_nop 7
	s_nop 2
	v_mov_b64_e32 v[30:31], v[14:15]
	v_mov_b64_e32 v[28:29], v[12:13]
	;; [unrolled: 1-line block ×8, first 2 shown]
	scratch_load_dwordx4 v[0:3], off, off offset:1664 ; 16-byte Folded Reload
	scratch_load_dwordx4 v[4:7], off, off offset:1680 ; 16-byte Folded Reload
	;; [unrolled: 1-line block ×4, first 2 shown]
	s_waitcnt vmcnt(4)
	v_mfma_f32_32x32x16_fp8_fp8 v[36:51], v[116:117], v[96:97], v[36:51]
	s_waitcnt vmcnt(0)
	v_mfma_f32_32x32x16_fp8_fp8 v[0:15], v[116:117], v[108:109], v[0:15]
	s_nop 7
	s_nop 2
	v_mov_b64_e32 v[106:107], v[14:15]
	v_mov_b64_e32 v[104:105], v[12:13]
	v_mov_b64_e32 v[102:103], v[10:11]
	v_mov_b64_e32 v[100:101], v[8:9]
	v_mov_b64_e32 v[98:99], v[6:7]
	v_mov_b64_e32 v[96:97], v[4:5]
	v_mov_b64_e32 v[94:95], v[2:3]
	v_mov_b64_e32 v[92:93], v[0:1]
	scratch_load_dwordx4 v[0:3], off, off offset:1600 ; 16-byte Folded Reload
	scratch_load_dwordx4 v[4:7], off, off offset:1616 ; 16-byte Folded Reload
	scratch_load_dwordx4 v[8:11], off, off offset:1632 ; 16-byte Folded Reload
	scratch_load_dwordx4 v[12:15], off, off offset:1648 ; 16-byte Folded Reload
	s_waitcnt vmcnt(0)
	v_mfma_f32_32x32x16_fp8_fp8 v[0:15], v[116:117], v[52:53], v[0:15]
	s_nop 7
	s_nop 2
	v_mov_b64_e32 v[86:87], v[14:15]
	v_mov_b64_e32 v[84:85], v[12:13]
	v_mov_b64_e32 v[82:83], v[10:11]
	v_mov_b64_e32 v[80:81], v[8:9]
	v_mov_b64_e32 v[78:79], v[6:7]
	v_mov_b64_e32 v[76:77], v[4:5]
	v_mov_b64_e32 v[74:75], v[2:3]
	v_mov_b64_e32 v[72:73], v[0:1]
	scratch_load_dwordx4 v[0:3], off, off offset:1984 ; 16-byte Folded Reload
	scratch_load_dwordx4 v[4:7], off, off offset:2000 ; 16-byte Folded Reload
	scratch_load_dwordx4 v[8:11], off, off offset:2016 ; 16-byte Folded Reload
	scratch_load_dwordx4 v[12:15], off, off offset:2032 ; 16-byte Folded Reload
	s_waitcnt vmcnt(0)
	v_mfma_f32_32x32x16_fp8_fp8 v[0:15], v[116:117], v[112:113], v[0:15]
	s_nop 7
	s_nop 2
	v_mov_b64_e32 v[70:71], v[14:15]
	v_mov_b64_e32 v[68:69], v[12:13]
	v_mov_b64_e32 v[66:67], v[10:11]
	v_mov_b64_e32 v[64:65], v[8:9]
	v_mov_b64_e32 v[62:63], v[6:7]
	v_mov_b64_e32 v[60:61], v[4:5]
	v_mov_b64_e32 v[58:59], v[2:3]
	v_mov_b64_e32 v[56:57], v[0:1]
	scratch_load_dwordx4 v[0:3], off, off offset:1464 ; 16-byte Folded Reload
	scratch_load_dwordx4 v[4:7], off, off offset:1480 ; 16-byte Folded Reload
	scratch_load_dwordx4 v[8:11], off, off offset:1496 ; 16-byte Folded Reload
	scratch_load_dwordx4 v[12:15], off, off offset:1512 ; 16-byte Folded Reload
	s_waitcnt vmcnt(0)
	v_mfma_f32_32x32x16_fp8_fp8 v[0:15], v[116:117], v[120:121], v[0:15]
	s_nop 7
	s_nop 2
	scratch_store_dwordx4 off, v[0:3], off offset:1464 ; 16-byte Folded Spill
	s_nop 0
	scratch_store_dwordx4 off, v[4:7], off offset:1480 ; 16-byte Folded Spill
	scratch_store_dwordx4 off, v[8:11], off offset:1496 ; 16-byte Folded Spill
	;; [unrolled: 1-line block ×3, first 2 shown]
	v_mfma_f32_32x32x16_fp8_fp8 v[16:31], v[118:119], v[32:33], v[16:31]
	scratch_load_dwordx4 v[0:3], off, off offset:1920 ; 16-byte Folded Reload
	scratch_load_dwordx4 v[4:7], off, off offset:1936 ; 16-byte Folded Reload
	;; [unrolled: 1-line block ×4, first 2 shown]
	s_nop 6
	scratch_store_dwordx4 off, v[16:19], off offset:1792 ; 16-byte Folded Spill
	s_nop 0
	scratch_store_dwordx4 off, v[20:23], off offset:1808 ; 16-byte Folded Spill
	scratch_store_dwordx4 off, v[24:27], off offset:1824 ; 16-byte Folded Spill
	;; [unrolled: 1-line block ×3, first 2 shown]
	v_mfma_f32_32x32x16_fp8_fp8 v[36:51], v[118:119], v[90:91], v[36:51]
	s_nop 7
	s_nop 2
	scratch_store_dwordx4 off, v[36:39], off offset:1728 ; 16-byte Folded Spill
	s_nop 0
	scratch_store_dwordx4 off, v[40:43], off offset:1744 ; 16-byte Folded Spill
	scratch_store_dwordx4 off, v[44:47], off offset:1760 ; 16-byte Folded Spill
	;; [unrolled: 1-line block ×3, first 2 shown]
	s_nop 1
	v_mov_b64_e32 v[48:49], v[112:113]
	v_mov_b64_e32 v[50:51], v[114:115]
	v_mfma_f32_32x32x16_fp8_fp8 v[92:107], v[118:119], v[110:111], v[92:107]
	s_nop 7
	s_nop 2
	scratch_store_dwordx4 off, v[92:95], off offset:1664 ; 16-byte Folded Spill
	s_nop 0
	scratch_store_dwordx4 off, v[96:99], off offset:1680 ; 16-byte Folded Spill
	scratch_store_dwordx4 off, v[100:103], off offset:1696 ; 16-byte Folded Spill
	scratch_store_dwordx4 off, v[104:107], off offset:1712 ; 16-byte Folded Spill
	v_mfma_f32_32x32x16_fp8_fp8 v[72:87], v[118:119], v[54:55], v[72:87]
	s_nop 7
	s_nop 2
	scratch_store_dwordx4 off, v[72:75], off offset:1600 ; 16-byte Folded Spill
	s_nop 0
	scratch_store_dwordx4 off, v[76:79], off offset:1616 ; 16-byte Folded Spill
	scratch_store_dwordx4 off, v[80:83], off offset:1632 ; 16-byte Folded Spill
	scratch_store_dwordx4 off, v[84:87], off offset:1648 ; 16-byte Folded Spill
	v_mfma_f32_32x32x16_fp8_fp8 v[56:71], v[118:119], v[50:51], v[56:71]
	s_nop 7
	s_nop 2
	scratch_store_dwordx4 off, v[56:59], off offset:1984 ; 16-byte Folded Spill
	s_nop 0
	scratch_store_dwordx4 off, v[60:63], off offset:2000 ; 16-byte Folded Spill
	scratch_store_dwordx4 off, v[64:67], off offset:2016 ; 16-byte Folded Spill
	scratch_store_dwordx4 off, v[68:71], off offset:2032 ; 16-byte Folded Spill
	scratch_load_dwordx4 v[16:19], off, off offset:1464 ; 16-byte Folded Reload
	scratch_load_dwordx4 v[20:23], off, off offset:1480 ; 16-byte Folded Reload
	;; [unrolled: 1-line block ×4, first 2 shown]
	s_waitcnt vmcnt(24)
	v_mfma_f32_32x32x16_fp8_fp8 v[0:15], v[116:117], v[124:125], v[0:15]
	s_waitcnt vmcnt(0)
	v_mfma_f32_32x32x16_fp8_fp8 v[16:31], v[118:119], v[122:123], v[16:31]
	s_nop 7
	s_nop 2
	scratch_store_dwordx4 off, v[16:19], off offset:1464 ; 16-byte Folded Spill
	s_nop 0
	scratch_store_dwordx4 off, v[20:23], off offset:1480 ; 16-byte Folded Spill
	scratch_store_dwordx4 off, v[24:27], off offset:1496 ; 16-byte Folded Spill
	scratch_store_dwordx4 off, v[28:31], off offset:1512 ; 16-byte Folded Spill
	v_mfma_f32_32x32x16_fp8_fp8 v[0:15], v[118:119], v[126:127], v[0:15]
	s_nop 7
	s_nop 2
	scratch_store_dwordx4 off, v[0:3], off offset:1920 ; 16-byte Folded Spill
	s_nop 0
	scratch_store_dwordx4 off, v[4:7], off offset:1936 ; 16-byte Folded Spill
	scratch_store_dwordx4 off, v[8:11], off offset:1952 ; 16-byte Folded Spill
	;; [unrolled: 1-line block ×3, first 2 shown]
	scratch_load_dwordx4 v[32:35], off, off offset:2528 ; 16-byte Folded Reload
	scratch_load_dwordx4 v[36:39], off, off offset:2544 ; 16-byte Folded Reload
	;; [unrolled: 1-line block ×10, first 2 shown]
	s_waitcnt vmcnt(0)
	v_mfma_f32_32x32x16_fp8_fp8 v[56:71], v[92:93], v[88:89], v[56:71]
	v_mov_b64_e32 v[16:17], v[120:121]
	v_mov_b64_e32 v[4:5], v[124:125]
	;; [unrolled: 1-line block ×4, first 2 shown]
	v_mfma_f32_32x32x16_fp8_fp8 v[56:71], v[94:95], v[90:91], v[56:71]
	s_nop 7
	s_nop 2
	scratch_store_dwordx4 off, v[56:59], off offset:1856 ; 16-byte Folded Spill
	s_nop 0
	scratch_store_dwordx4 off, v[60:63], off offset:1872 ; 16-byte Folded Spill
	scratch_store_dwordx4 off, v[64:67], off offset:1888 ; 16-byte Folded Spill
	;; [unrolled: 1-line block ×3, first 2 shown]
	scratch_load_dwordx4 v[72:75], off, off offset:2464 ; 16-byte Folded Reload
	scratch_load_dwordx4 v[76:79], off, off offset:2480 ; 16-byte Folded Reload
	;; [unrolled: 1-line block ×4, first 2 shown]
	s_waitcnt vmcnt(0)
	v_mfma_f32_32x32x16_fp8_fp8 v[72:87], v[92:93], v[108:109], v[72:87]
	scratch_load_dwordx4 v[112:115], off, off offset:2796 ; 16-byte Folded Reload
	scratch_load_dwordx4 v[116:119], off, off offset:2812 ; 16-byte Folded Reload
	;; [unrolled: 1-line block ×4, first 2 shown]
	v_mfma_f32_32x32x16_fp8_fp8 v[72:87], v[94:95], v[110:111], v[72:87]
	scratch_load_dwordx4 v[96:99], off, off offset:2732 ; 16-byte Folded Reload
	scratch_load_dwordx4 v[100:103], off, off offset:2748 ; 16-byte Folded Reload
	;; [unrolled: 1-line block ×8, first 2 shown]
	v_mfma_f32_32x32x16_fp8_fp8 v[32:47], v[92:93], v[0:1], v[32:47]
	v_mfma_f32_32x32x16_fp8_fp8 v[32:47], v[94:95], v[2:3], v[32:47]
	v_mov_b64_e32 v[0:1], v[48:49]
	v_mov_b64_e32 v[2:3], v[50:51]
	s_waitcnt vmcnt(4)
	v_mfma_f32_32x32x16_fp8_fp8 v[96:111], v[92:93], v[0:1], v[96:111]
	v_mfma_f32_32x32x16_fp8_fp8 v[96:111], v[94:95], v[2:3], v[96:111]
	v_mov_b64_e32 v[0:1], v[16:17]
	v_mov_b64_e32 v[2:3], v[18:19]
	scratch_load_dwordx4 v[16:19], off, off offset:2604 ; 16-byte Folded Reload
	scratch_load_dwordx4 v[20:23], off, off offset:2620 ; 16-byte Folded Reload
	;; [unrolled: 1-line block ×4, first 2 shown]
	s_waitcnt vmcnt(4)
	v_mfma_f32_32x32x16_fp8_fp8 v[56:71], v[92:93], v[0:1], v[56:71]
	s_waitcnt vmcnt(0)
	v_mfma_f32_32x32x16_fp8_fp8 v[16:31], v[92:93], v[4:5], v[16:31]
	v_mfma_f32_32x32x16_fp8_fp8 v[56:71], v[94:95], v[2:3], v[56:71]
	;; [unrolled: 1-line block ×3, first 2 shown]
	scratch_load_dwordx4 v[0:3], off, off offset:1792 ; 16-byte Folded Reload
	scratch_load_dwordx4 v[4:7], off, off offset:1808 ; 16-byte Folded Reload
	scratch_load_dwordx4 v[8:11], off, off offset:1824 ; 16-byte Folded Reload
	scratch_load_dwordx4 v[12:15], off, off offset:1840 ; 16-byte Folded Reload
	s_waitcnt vmcnt(0)
	scratch_store_dwordx4 off, v[12:15], off offset:496
	scratch_store_dwordx4 off, v[8:11], off offset:480
	scratch_store_dwordx4 off, v[4:7], off offset:464
	scratch_store_dwordx4 off, v[0:3], off offset:448
	scratch_load_dwordx4 v[0:3], off, off offset:1728 ; 16-byte Folded Reload
	s_nop 0
	scratch_load_dwordx4 v[4:7], off, off offset:1744 ; 16-byte Folded Reload
	scratch_load_dwordx4 v[8:11], off, off offset:1760 ; 16-byte Folded Reload
	scratch_load_dwordx4 v[12:15], off, off offset:1776 ; 16-byte Folded Reload
	s_waitcnt vmcnt(0)
	scratch_store_dwordx4 off, v[12:15], off offset:560
	scratch_store_dwordx4 off, v[8:11], off offset:544
	scratch_store_dwordx4 off, v[4:7], off offset:528
	scratch_store_dwordx4 off, v[0:3], off offset:512
	scratch_load_dwordx4 v[0:3], off, off offset:1664 ; 16-byte Folded Reload
	s_nop 0
	scratch_load_dwordx4 v[4:7], off, off offset:1680 ; 16-byte Folded Reload
	scratch_load_dwordx4 v[8:11], off, off offset:1696 ; 16-byte Folded Reload
	scratch_load_dwordx4 v[12:15], off, off offset:1712 ; 16-byte Folded Reload
	;; [unrolled: 10-line block ×6, first 2 shown]
	s_waitcnt vmcnt(0)
	scratch_store_dwordx4 off, v[12:15], off offset:880
	scratch_store_dwordx4 off, v[8:11], off offset:864
	;; [unrolled: 1-line block ×7, first 2 shown]
	scratch_store_dwordx4 off, v[32:35], off offset:2528 ; 16-byte Folded Spill
	s_nop 0
	scratch_store_dwordx4 off, v[36:39], off offset:2544 ; 16-byte Folded Spill
	scratch_store_dwordx4 off, v[40:43], off offset:2560 ; 16-byte Folded Spill
	;; [unrolled: 1-line block ×3, first 2 shown]
	scratch_store_dwordx4 off, v[32:35], off offset:896
	scratch_load_dwordx4 v[0:3], off, off offset:1856 ; 16-byte Folded Reload
	scratch_load_dwordx4 v[4:7], off, off offset:1872 ; 16-byte Folded Reload
	;; [unrolled: 1-line block ×4, first 2 shown]
	s_waitcnt vmcnt(0)
	scratch_store_dwordx4 off, v[12:15], off offset:1008
	scratch_store_dwordx4 off, v[8:11], off offset:992
	;; [unrolled: 1-line block ×7, first 2 shown]
	scratch_store_dwordx4 off, v[72:75], off offset:2464 ; 16-byte Folded Spill
	s_nop 0
	scratch_store_dwordx4 off, v[76:79], off offset:2480 ; 16-byte Folded Spill
	scratch_store_dwordx4 off, v[80:83], off offset:2496 ; 16-byte Folded Spill
	;; [unrolled: 1-line block ×3, first 2 shown]
	v_mfma_f32_32x32x16_fp8_fp8 v[112:127], v[92:93], v[52:53], v[112:127]
	v_mov_b64_e32 v[32:33], v[56:57]
	v_mov_b64_e32 v[34:35], v[58:59]
	;; [unrolled: 1-line block ×7, first 2 shown]
	v_mfma_f32_32x32x16_fp8_fp8 v[112:127], v[94:95], v[54:55], v[112:127]
	v_mov_b64_e32 v[46:47], v[70:71]
	v_mov_b64_e32 v[48:49], v[96:97]
	;; [unrolled: 1-line block ×9, first 2 shown]
	s_nop 1
	v_mov_b64_e32 v[84:85], v[112:113]
	v_mov_b64_e32 v[86:87], v[114:115]
	;; [unrolled: 1-line block ×16, first 2 shown]
	scratch_store_dwordx4 off, v[72:75], off offset:1024
	scratch_store_dwordx4 off, v[96:99], off offset:1136
	;; [unrolled: 1-line block ×17, first 2 shown]
.LBB61_11:                              ;   in Loop: Header=BB61_12 Depth=2
	s_or_b64 exec, exec, s[2:3]
	scratch_load_dwordx2 v[0:1], off, off offset:1456 ; 8-byte Folded Reload
	s_addk_i32 s43, 0x400
	s_cmp_ge_u32 s43, s20
	s_waitcnt vmcnt(0)
	v_add_u32_e32 v0, 0x400, v0
	scratch_store_dwordx2 off, v[0:1], off offset:1456 ; 8-byte Folded Spill
	scratch_load_dwordx2 v[20:21], off, off offset:1592 ; 8-byte Folded Reload
	scratch_load_dword v22, off, off offset:2600 ; 4-byte Folded Reload
	s_cbranch_scc1 .LBB61_27
.LBB61_12:                              ;   Parent Loop BB61_8 Depth=1
                                        ; =>  This Loop Header: Depth=2
                                        ;       Child Loop BB61_14 Depth 3
	scratch_load_dwordx2 v[0:1], off, off offset:2592 ; 8-byte Folded Reload
	s_waitcnt vmcnt(0)
	v_add_u32_e32 v82, s43, v0
	v_cmp_gt_u32_e32 vcc, s20, v82
	s_and_saveexec_b64 s[2:3], vcc
	s_cbranch_execz .LBB61_11
; %bb.13:                               ;   in Loop: Header=BB61_12 Depth=2
	scratch_store_dwordx4 off, v[84:87], off offset:2796 ; 16-byte Folded Spill
	s_nop 0
	scratch_store_dwordx4 off, v[88:91], off offset:2812 ; 16-byte Folded Spill
	scratch_store_dwordx4 off, v[92:95], off offset:2828 ; 16-byte Folded Spill
	;; [unrolled: 1-line block ×3, first 2 shown]
	scratch_load_dwordx2 v[0:1], off, off offset:1456 ; 8-byte Folded Reload
	v_mov_b32_e32 v83, 0x540
	s_mov_b32 s5, 0
	s_mov_b64 s[6:7], 0
	s_waitcnt vmcnt(0) lgkmcnt(0)
	v_lshl_add_u64 v[80:81], s[26:27], 0, v[0:1]
	scratch_load_dwordx2 v[0:1], off, off offset:1592 ; 8-byte Folded Reload
.LBB61_14:                              ;   Parent Loop BB61_8 Depth=1
                                        ;     Parent Loop BB61_12 Depth=2
                                        ; =>    This Inner Loop Header: Depth=3
	global_load_dwordx4 v[84:87], v[80:81], off nt
	s_add_i32 s10, s5, 1
	s_cmp_gt_u32 s5, 5
	s_cselect_b64 s[8:9], -1, 0
	v_lshl_add_u64 v[80:81], v[80:81], 0, s[34:35]
	s_mov_b32 s5, s10
	s_waitcnt vmcnt(0)
	scratch_store_dwordx4 v83, v[84:87], off
	s_nop 1
	v_add_u32_e32 v84, s10, v0
	v_cmp_le_u32_e32 vcc, s22, v84
	s_or_b64 s[8:9], s[8:9], vcc
	s_and_b64 s[8:9], exec, s[8:9]
	v_add_u32_e32 v83, 16, v83
	s_or_b64 s[6:7], s[8:9], s[6:7]
	s_andn2_b64 exec, exec, s[6:7]
	s_cbranch_execnz .LBB61_14
; %bb.15:                               ;   in Loop: Header=BB61_12 Depth=2
	s_or_b64 exec, exec, s[6:7]
	v_cmp_lt_u32_e32 vcc, s21, v82
                                        ; implicit-def: $vgpr116_vgpr117
	s_and_saveexec_b64 s[6:7], vcc
	s_xor_b64 s[6:7], exec, s[6:7]
	s_cbranch_execz .LBB61_17
; %bb.16:                               ;   in Loop: Header=BB61_12 Depth=2
	global_load_dwordx4 v[116:119], v82, s[24:25]
.LBB61_17:                              ;   in Loop: Header=BB61_12 Depth=2
	s_andn2_saveexec_b64 s[6:7], s[6:7]
	s_cbranch_execz .LBB61_19
; %bb.18:                               ;   in Loop: Header=BB61_12 Depth=2
	s_waitcnt vmcnt(0)
	ds_read_b128 v[116:119], v82
.LBB61_19:                              ;   in Loop: Header=BB61_12 Depth=2
	s_or_b64 exec, exec, s[6:7]
	v_add_u32_e32 v80, s20, v82
	v_cmp_lt_u32_e32 vcc, s21, v80
                                        ; implicit-def: $vgpr0_vgpr1
	scratch_store_dwordx4 off, v[0:3], off offset:2064 ; 16-byte Folded Spill
	s_and_saveexec_b64 s[6:7], vcc
	s_xor_b64 s[6:7], exec, s[6:7]
	s_cbranch_execz .LBB61_21
; %bb.20:                               ;   in Loop: Header=BB61_12 Depth=2
	global_load_dwordx4 v[18:21], v80, s[24:25]
	s_waitcnt vmcnt(0)
	scratch_store_dwordx4 off, v[18:21], off offset:2064 ; 16-byte Folded Spill
.LBB61_21:                              ;   in Loop: Header=BB61_12 Depth=2
	s_andn2_saveexec_b64 s[6:7], s[6:7]
	s_cbranch_execz .LBB61_23
; %bb.22:                               ;   in Loop: Header=BB61_12 Depth=2
	ds_read_b128 v[18:21], v80
	s_waitcnt lgkmcnt(0)
	scratch_store_dwordx4 off, v[18:21], off offset:2064 ; 16-byte Folded Spill
.LBB61_23:                              ;   in Loop: Header=BB61_12 Depth=2
	s_or_b64 exec, exec, s[6:7]
	v_add_u32_e32 v84, s20, v80
	v_cmp_lt_u32_e32 vcc, s21, v84
                                        ; implicit-def: $vgpr0_vgpr1
	scratch_store_dwordx4 off, v[0:3], off offset:2048 ; 16-byte Folded Spill
	s_and_saveexec_b64 s[6:7], vcc
	s_xor_b64 s[6:7], exec, s[6:7]
	s_cbranch_execz .LBB61_25
; %bb.24:                               ;   in Loop: Header=BB61_12 Depth=2
	global_load_dwordx4 v[18:21], v84, s[24:25]
                                        ; implicit-def: $vgpr84
	s_waitcnt vmcnt(0)
	scratch_store_dwordx4 off, v[18:21], off offset:2048 ; 16-byte Folded Spill
.LBB61_25:                              ;   in Loop: Header=BB61_12 Depth=2
	s_or_saveexec_b64 s[6:7], s[6:7]
	scratch_store_dwordx4 off, v[48:51], off offset:2732 ; 16-byte Folded Spill
	s_nop 0
	scratch_store_dwordx4 off, v[52:55], off offset:2748 ; 16-byte Folded Spill
	scratch_store_dwordx4 off, v[56:59], off offset:2764 ; 16-byte Folded Spill
	scratch_store_dwordx4 off, v[60:63], off offset:2780 ; 16-byte Folded Spill
	scratch_store_dwordx4 off, v[32:35], off offset:2668 ; 16-byte Folded Spill
	s_nop 0
	scratch_store_dwordx4 off, v[36:39], off offset:2684 ; 16-byte Folded Spill
	scratch_store_dwordx4 off, v[40:43], off offset:2700 ; 16-byte Folded Spill
	scratch_store_dwordx4 off, v[44:47], off offset:2716 ; 16-byte Folded Spill
	;; [unrolled: 5-line block ×3, first 2 shown]
	s_xor_b64 exec, exec, s[6:7]
	s_cbranch_execz .LBB61_10
; %bb.26:                               ;   in Loop: Header=BB61_12 Depth=2
	ds_read_b128 v[0:3], v84
	s_waitcnt lgkmcnt(0)
	scratch_store_dwordx4 off, v[0:3], off offset:2048 ; 16-byte Folded Spill
	s_branch .LBB61_10
.LBB61_27:                              ;   in Loop: Header=BB61_8 Depth=1
	scratch_load_dwordx4 v[0:3], off, off offset:2400 ; 16-byte Folded Reload
	scratch_load_dwordx4 v[4:7], off, off offset:2416 ; 16-byte Folded Reload
	scratch_load_dwordx4 v[8:11], off, off offset:2432 ; 16-byte Folded Reload
	scratch_load_dwordx4 v[12:15], off, off offset:2448 ; 16-byte Folded Reload
	s_waitcnt vmcnt(0)
	scratch_store_dwordx4 off, v[12:15], off offset:176
	scratch_store_dwordx4 off, v[8:11], off offset:160
	scratch_store_dwordx4 off, v[4:7], off offset:144
	scratch_store_dwordx4 off, v[0:3], off offset:128
	scratch_load_dwordx4 v[0:3], off, off offset:2336 ; 16-byte Folded Reload
	s_nop 0
	scratch_load_dwordx4 v[4:7], off, off offset:2352 ; 16-byte Folded Reload
	scratch_load_dwordx4 v[8:11], off, off offset:2368 ; 16-byte Folded Reload
	scratch_load_dwordx4 v[12:15], off, off offset:2384 ; 16-byte Folded Reload
	s_waitcnt vmcnt(0)
	scratch_store_dwordx4 off, v[12:15], off offset:240
	scratch_store_dwordx4 off, v[8:11], off offset:224
	scratch_store_dwordx4 off, v[4:7], off offset:208
	scratch_store_dwordx4 off, v[0:3], off offset:192
	scratch_load_dwordx4 v[0:3], off, off offset:2272 ; 16-byte Folded Reload
	s_nop 0
	scratch_load_dwordx4 v[4:7], off, off offset:2288 ; 16-byte Folded Reload
	scratch_load_dwordx4 v[8:11], off, off offset:2304 ; 16-byte Folded Reload
	scratch_load_dwordx4 v[12:15], off, off offset:2320 ; 16-byte Folded Reload
	s_waitcnt vmcnt(0)
	scratch_store_dwordx4 off, v[12:15], off offset:304
	scratch_store_dwordx4 off, v[8:11], off offset:288
	scratch_store_dwordx4 off, v[4:7], off offset:272
	scratch_store_dwordx4 off, v[0:3], off offset:256
	scratch_load_dwordx4 v[0:3], off, off offset:2208 ; 16-byte Folded Reload
	s_nop 0
	scratch_load_dwordx4 v[4:7], off, off offset:2224 ; 16-byte Folded Reload
	scratch_load_dwordx4 v[8:11], off, off offset:2240 ; 16-byte Folded Reload
	scratch_load_dwordx4 v[12:15], off, off offset:2256 ; 16-byte Folded Reload
	s_waitcnt vmcnt(0)
	scratch_store_dwordx4 off, v[12:15], off offset:368
	scratch_store_dwordx4 off, v[8:11], off offset:352
	scratch_store_dwordx4 off, v[4:7], off offset:336
	scratch_store_dwordx4 off, v[0:3], off offset:320
	scratch_load_dwordx4 v[0:3], off, off offset:2144 ; 16-byte Folded Reload
	s_nop 0
	scratch_load_dwordx4 v[4:7], off, off offset:2160 ; 16-byte Folded Reload
	scratch_load_dwordx4 v[8:11], off, off offset:2176 ; 16-byte Folded Reload
	scratch_load_dwordx4 v[12:15], off, off offset:2192 ; 16-byte Folded Reload
	s_waitcnt vmcnt(0)
	scratch_store_dwordx4 off, v[12:15], off offset:432
	scratch_store_dwordx4 off, v[8:11], off offset:416
	scratch_store_dwordx4 off, v[4:7], off offset:400
	scratch_store_dwordx4 off, v[0:3], off offset:384
	scratch_load_dwordx4 v[0:3], off, off offset:2080 ; 16-byte Folded Reload
	s_nop 0
	scratch_load_dwordx4 v[4:7], off, off offset:2096 ; 16-byte Folded Reload
	scratch_load_dwordx4 v[8:11], off, off offset:2112 ; 16-byte Folded Reload
	scratch_load_dwordx4 v[12:15], off, off offset:2128 ; 16-byte Folded Reload
	s_waitcnt vmcnt(0)
	scratch_store_dwordx4 off, v[12:15], off offset:48
	scratch_store_dwordx4 off, v[8:11], off offset:32
	;; [unrolled: 1-line block ×3, first 2 shown]
	scratch_store_dwordx4 off, v[0:3], off
	scratch_load_dwordx4 v[0:3], off, off offset:1528 ; 16-byte Folded Reload
	s_nop 0
	scratch_load_dwordx4 v[4:7], off, off offset:1544 ; 16-byte Folded Reload
	scratch_load_dwordx4 v[8:11], off, off offset:1560 ; 16-byte Folded Reload
	scratch_load_dwordx4 v[12:15], off, off offset:1576 ; 16-byte Folded Reload
	s_waitcnt vmcnt(0)
	scratch_store_dwordx4 off, v[12:15], off offset:112
	scratch_store_dwordx4 off, v[8:11], off offset:96
	scratch_store_dwordx4 off, v[4:7], off offset:80
	scratch_store_dwordx4 off, v[0:3], off offset:64
.LBB61_28:                              ;   in Loop: Header=BB61_8 Depth=1
	s_mov_b32 s2, 0
.LBB61_29:                              ;   Parent Loop BB61_8 Depth=1
                                        ; =>  This Inner Loop Header: Depth=2
	s_add_i32 s3, s2, 0
	scratch_load_dwordx4 v[0:3], off, s3 offset:48
	scratch_load_dwordx4 v[4:7], off, s3 offset:32
	scratch_load_dwordx4 v[8:11], off, s3
	scratch_load_dwordx4 v[12:15], off, s3 offset:16
	s_add_i32 s2, s2, 64
	s_cmpk_lg_i32 s2, 0x1c0
	s_waitcnt vmcnt(2)
	;;#ASMSTART
	v_add_f32 v4, v5, v4 row_shl:1 bound_ctrl:0 
	;;#ASMEND
	s_nop 0
	;;#ASMSTART
	v_add_f32 v4, v6, v4 row_shl:2 bound_ctrl:0 
	;;#ASMEND
	s_waitcnt vmcnt(1)
	;;#ASMSTART
	v_add_f32 v8, v9, v8 row_shl:1 bound_ctrl:0 
	;;#ASMEND
	;;#ASMSTART
	v_add_f32 v4, v7, v4 row_shl:3 bound_ctrl:0 
	;;#ASMEND
	s_nop 0
	;;#ASMSTART
	v_add_f32 v8, v10, v8 row_shl:2 bound_ctrl:0 
	;;#ASMEND
	;;#ASMSTART
	v_add_f32 v4, v0, v4 row_shl:8 bound_ctrl:0 
	;;#ASMEND
	s_nop 0
	;;#ASMSTART
	v_add_f32 v8, v11, v8 row_shl:3 bound_ctrl:0 
	;;#ASMEND
	;;#ASMSTART
	v_add_f32 v4, v1, v4 row_shl:9 bound_ctrl:0 
	;;#ASMEND
	s_waitcnt vmcnt(0)
	;;#ASMSTART
	v_add_f32 v8, v12, v8 row_shl:8 bound_ctrl:0 
	;;#ASMEND
	;;#ASMSTART
	v_add_f32 v4, v2, v4 row_shl:10 bound_ctrl:0 
	;;#ASMEND
	s_nop 0
	;;#ASMSTART
	v_add_f32 v8, v13, v8 row_shl:9 bound_ctrl:0 
	;;#ASMEND
	;;#ASMSTART
	v_add_f32 v4, v3, v4 row_shl:11 bound_ctrl:0 
	;;#ASMEND
	ds_bpermute_b32 v0, v22, v4 offset:208
	;;#ASMSTART
	v_add_f32 v8, v14, v8 row_shl:10 bound_ctrl:0 
	;;#ASMEND
	s_waitcnt lgkmcnt(0)
	v_add_f32_e32 v0, v4, v0
	;;#ASMSTART
	v_add_f32 v8, v15, v8 row_shl:11 bound_ctrl:0 
	;;#ASMEND
	ds_bpermute_b32 v1, v22, v8 offset:144
	ds_bpermute_b32 v0, v22, v0 offset:64
	s_waitcnt lgkmcnt(1)
	v_add_f32_e32 v1, v8, v1
	s_waitcnt lgkmcnt(0)
	v_add_f32_e32 v0, v1, v0
	scratch_store_dword off, v0, s3
	s_cbranch_scc1 .LBB61_29
; %bb.30:                               ;   in Loop: Header=BB61_8 Depth=1
	v_or_b32_e32 v0, 0x90, v22
	v_or_b32_e32 v1, 0xd0, v22
	;; [unrolled: 1-line block ×3, first 2 shown]
	s_movk_i32 s2, 0x1c0
.LBB61_31:                              ;   Parent Loop BB61_8 Depth=1
                                        ; =>  This Inner Loop Header: Depth=2
	s_add_i32 s3, s2, 0
	scratch_load_dwordx4 v[4:7], off, s3 offset:48
	scratch_load_dwordx4 v[8:11], off, s3 offset:32
	scratch_load_dwordx4 v[12:15], off, s3
	scratch_load_dwordx4 v[16:19], off, s3 offset:16
	s_add_i32 s2, s2, 64
	s_cmpk_lg_i32 s2, 0x380
	s_waitcnt vmcnt(2)
	;;#ASMSTART
	v_add_f32 v8, v9, v8 row_shl:1 bound_ctrl:0 
	;;#ASMEND
	s_nop 0
	;;#ASMSTART
	v_add_f32 v8, v10, v8 row_shl:2 bound_ctrl:0 
	;;#ASMEND
	s_waitcnt vmcnt(1)
	;;#ASMSTART
	v_add_f32 v12, v13, v12 row_shl:1 bound_ctrl:0 
	;;#ASMEND
	;;#ASMSTART
	v_add_f32 v8, v11, v8 row_shl:3 bound_ctrl:0 
	;;#ASMEND
	s_nop 0
	;;#ASMSTART
	v_add_f32 v12, v14, v12 row_shl:2 bound_ctrl:0 
	;;#ASMEND
	;;#ASMSTART
	v_add_f32 v8, v4, v8 row_shl:8 bound_ctrl:0 
	;;#ASMEND
	s_nop 0
	;;#ASMSTART
	v_add_f32 v12, v15, v12 row_shl:3 bound_ctrl:0 
	;;#ASMEND
	;;#ASMSTART
	v_add_f32 v8, v5, v8 row_shl:9 bound_ctrl:0 
	;;#ASMEND
	s_waitcnt vmcnt(0)
	;;#ASMSTART
	v_add_f32 v12, v16, v12 row_shl:8 bound_ctrl:0 
	;;#ASMEND
	;;#ASMSTART
	v_add_f32 v8, v6, v8 row_shl:10 bound_ctrl:0 
	;;#ASMEND
	s_nop 0
	;;#ASMSTART
	v_add_f32 v12, v17, v12 row_shl:9 bound_ctrl:0 
	;;#ASMEND
	;;#ASMSTART
	v_add_f32 v8, v7, v8 row_shl:11 bound_ctrl:0 
	;;#ASMEND
	ds_bpermute_b32 v3, v1, v8
	;;#ASMSTART
	v_add_f32 v12, v18, v12 row_shl:10 bound_ctrl:0 
	;;#ASMEND
	s_waitcnt lgkmcnt(0)
	v_add_f32_e32 v3, v8, v3
	;;#ASMSTART
	v_add_f32 v12, v19, v12 row_shl:11 bound_ctrl:0 
	;;#ASMEND
	ds_bpermute_b32 v4, v0, v12
	ds_bpermute_b32 v3, v2, v3
	s_waitcnt lgkmcnt(1)
	v_add_f32_e32 v4, v12, v4
	s_waitcnt lgkmcnt(0)
	v_add_f32_e32 v3, v4, v3
	scratch_store_dword off, v3, s3
	s_cbranch_scc1 .LBB61_31
; %bb.32:                               ;   in Loop: Header=BB61_8 Depth=1
	s_movk_i32 s2, 0x380
.LBB61_33:                              ;   Parent Loop BB61_8 Depth=1
                                        ; =>  This Inner Loop Header: Depth=2
	s_add_i32 s3, s2, 0
	scratch_load_dwordx4 v[4:7], off, s3 offset:48
	scratch_load_dwordx4 v[8:11], off, s3 offset:32
	scratch_load_dwordx4 v[12:15], off, s3
	scratch_load_dwordx4 v[16:19], off, s3 offset:16
	s_add_i32 s2, s2, 64
	s_cmpk_lg_i32 s2, 0x540
	s_waitcnt vmcnt(2)
	;;#ASMSTART
	v_add_f32 v8, v9, v8 row_shl:1 bound_ctrl:0 
	;;#ASMEND
	s_nop 0
	;;#ASMSTART
	v_add_f32 v8, v10, v8 row_shl:2 bound_ctrl:0 
	;;#ASMEND
	s_waitcnt vmcnt(1)
	;;#ASMSTART
	v_add_f32 v12, v13, v12 row_shl:1 bound_ctrl:0 
	;;#ASMEND
	;;#ASMSTART
	v_add_f32 v8, v11, v8 row_shl:3 bound_ctrl:0 
	;;#ASMEND
	s_nop 0
	;;#ASMSTART
	v_add_f32 v12, v14, v12 row_shl:2 bound_ctrl:0 
	;;#ASMEND
	;;#ASMSTART
	v_add_f32 v8, v4, v8 row_shl:8 bound_ctrl:0 
	;;#ASMEND
	s_nop 0
	;;#ASMSTART
	v_add_f32 v12, v15, v12 row_shl:3 bound_ctrl:0 
	;;#ASMEND
	;;#ASMSTART
	v_add_f32 v8, v5, v8 row_shl:9 bound_ctrl:0 
	;;#ASMEND
	s_waitcnt vmcnt(0)
	;;#ASMSTART
	v_add_f32 v12, v16, v12 row_shl:8 bound_ctrl:0 
	;;#ASMEND
	;;#ASMSTART
	v_add_f32 v8, v6, v8 row_shl:10 bound_ctrl:0 
	;;#ASMEND
	s_nop 0
	;;#ASMSTART
	v_add_f32 v12, v17, v12 row_shl:9 bound_ctrl:0 
	;;#ASMEND
	;;#ASMSTART
	v_add_f32 v8, v7, v8 row_shl:11 bound_ctrl:0 
	;;#ASMEND
	ds_bpermute_b32 v3, v1, v8
	;;#ASMSTART
	v_add_f32 v12, v18, v12 row_shl:10 bound_ctrl:0 
	;;#ASMEND
	s_waitcnt lgkmcnt(0)
	v_add_f32_e32 v3, v8, v3
	;;#ASMSTART
	v_add_f32 v12, v19, v12 row_shl:11 bound_ctrl:0 
	;;#ASMEND
	ds_bpermute_b32 v4, v0, v12
	ds_bpermute_b32 v3, v2, v3
	s_waitcnt lgkmcnt(1)
	v_add_f32_e32 v4, v12, v4
	s_waitcnt lgkmcnt(0)
	v_add_f32_e32 v3, v4, v3
	scratch_store_dword off, v3, s3
	s_cbranch_scc1 .LBB61_33
; %bb.34:                               ;   in Loop: Header=BB61_8 Depth=1
	s_and_saveexec_b64 s[6:7], s[0:1]
	s_cbranch_execz .LBB61_7
; %bb.35:                               ;   in Loop: Header=BB61_8 Depth=1
	scratch_load_dwordx4 v[0:3], off, off
                                        ; implicit-def: $vgpr2
	s_waitcnt vmcnt(0)
	v_mul_f32_e32 v0, s23, v0
	v_mul_f32_e32 v0, s33, v0
	v_and_b32_e32 v1, 0x7f800000, v0
	v_cmp_ne_u32_e32 vcc, s41, v1
	s_and_saveexec_b64 s[2:3], vcc
	s_xor_b64 s[2:3], exec, s[2:3]
; %bb.36:                               ;   in Loop: Header=BB61_8 Depth=1
	v_bfe_u32 v1, v0, 16, 1
	v_add3_u32 v2, v0, v1, s42
                                        ; implicit-def: $vgpr0
; %bb.37:                               ;   in Loop: Header=BB61_8 Depth=1
	s_andn2_saveexec_b64 s[2:3], s[2:3]
	s_cbranch_execz .LBB61_39
; %bb.38:                               ;   in Loop: Header=BB61_8 Depth=1
	scratch_load_dwordx2 v[2:3], off, off offset:1456 ; 8-byte Folded Reload
	v_or_b32_e32 v1, 0x10000, v0
	s_waitcnt vmcnt(0)
	v_cmp_eq_u32_sdwa vcc, v0, v3 src0_sel:WORD_0 src1_sel:DWORD
	s_nop 1
	v_cndmask_b32_e32 v2, v1, v0, vcc
.LBB61_39:                              ;   in Loop: Header=BB61_8 Depth=1
	s_or_b64 exec, exec, s[2:3]
	scratch_load_dwordx2 v[0:1], off, off offset:1456 ; 8-byte Folded Reload
	s_waitcnt vmcnt(0)
	v_mov_b32_e32 v21, v1
	v_lshl_add_u64 v[0:1], v[20:21], 1, s[28:29]
	global_store_short_d16_hi v[0:1], v2, off
	v_add_u32_e32 v2, 1, v20
	v_cmp_gt_u32_e32 vcc, s22, v2
	s_and_saveexec_b64 s[8:9], vcc
	s_cbranch_execz .LBB61_70
; %bb.40:                               ;   in Loop: Header=BB61_8 Depth=1
	scratch_load_dwordx4 v[4:7], off, off offset:64
	s_waitcnt vmcnt(0)
	v_mul_f32_e32 v3, s23, v4
	v_mul_f32_e32 v3, s33, v3
	v_and_b32_e32 v4, 0x7f800000, v3
	v_cmp_ne_u32_e64 s[2:3], s41, v4
                                        ; implicit-def: $vgpr4
	s_and_saveexec_b64 s[10:11], s[2:3]
	s_xor_b64 s[2:3], exec, s[10:11]
; %bb.41:                               ;   in Loop: Header=BB61_8 Depth=1
	v_bfe_u32 v4, v3, 16, 1
	v_add3_u32 v4, v3, v4, s42
                                        ; implicit-def: $vgpr3
; %bb.42:                               ;   in Loop: Header=BB61_8 Depth=1
	s_andn2_saveexec_b64 s[10:11], s[2:3]
	s_cbranch_execz .LBB61_44
; %bb.43:                               ;   in Loop: Header=BB61_8 Depth=1
	scratch_load_dwordx2 v[6:7], off, off offset:1456 ; 8-byte Folded Reload
	v_or_b32_e32 v4, 0x10000, v3
	s_waitcnt vmcnt(0)
	v_cmp_eq_u32_sdwa s[2:3], v3, v7 src0_sel:WORD_0 src1_sel:DWORD
	s_nop 1
	v_cndmask_b32_e64 v4, v4, v3, s[2:3]
.LBB61_44:                              ;   in Loop: Header=BB61_8 Depth=1
	s_or_b64 exec, exec, s[10:11]
	v_add_u32_e32 v3, 2, v20
	v_cmp_gt_u32_e64 s[2:3], s22, v3
	global_store_short_d16_hi v[0:1], v4, off offset:2
	s_and_b64 exec, exec, s[2:3]
	s_cbranch_execz .LBB61_70
; %bb.45:                               ;   in Loop: Header=BB61_8 Depth=1
	scratch_load_dwordx4 v[4:7], off, off offset:128
	s_waitcnt vmcnt(0)
	v_mul_f32_e32 v3, s23, v4
	v_mul_f32_e32 v3, s33, v3
	v_and_b32_e32 v4, 0x7f800000, v3
	v_cmp_ne_u32_e64 s[2:3], s41, v4
                                        ; implicit-def: $vgpr4
	s_and_saveexec_b64 s[10:11], s[2:3]
	s_xor_b64 s[2:3], exec, s[10:11]
; %bb.46:                               ;   in Loop: Header=BB61_8 Depth=1
	v_bfe_u32 v4, v3, 16, 1
	v_add3_u32 v4, v3, v4, s42
                                        ; implicit-def: $vgpr3
; %bb.47:                               ;   in Loop: Header=BB61_8 Depth=1
	s_andn2_saveexec_b64 s[10:11], s[2:3]
	s_cbranch_execz .LBB61_49
; %bb.48:                               ;   in Loop: Header=BB61_8 Depth=1
	scratch_load_dwordx2 v[6:7], off, off offset:1456 ; 8-byte Folded Reload
	v_or_b32_e32 v4, 0x10000, v3
	s_waitcnt vmcnt(0)
	v_cmp_eq_u32_sdwa s[2:3], v3, v7 src0_sel:WORD_0 src1_sel:DWORD
	s_nop 1
	v_cndmask_b32_e64 v4, v4, v3, s[2:3]
.LBB61_49:                              ;   in Loop: Header=BB61_8 Depth=1
	s_or_b64 exec, exec, s[10:11]
	v_add_u32_e32 v3, 3, v20
	v_cmp_gt_u32_e64 s[2:3], s22, v3
	global_store_short_d16_hi v[0:1], v4, off offset:4
	s_and_b64 exec, exec, s[2:3]
	;; [unrolled: 31-line block ×5, first 2 shown]
	s_cbranch_execz .LBB61_70
; %bb.65:                               ;   in Loop: Header=BB61_8 Depth=1
	scratch_load_dwordx4 v[4:7], off, off offset:384
	s_waitcnt vmcnt(0)
	v_mul_f32_e32 v3, s23, v4
	v_mul_f32_e32 v3, s33, v3
	v_and_b32_e32 v4, 0x7f800000, v3
	v_cmp_ne_u32_e64 s[2:3], s41, v4
                                        ; implicit-def: $vgpr4
	s_and_saveexec_b64 s[10:11], s[2:3]
	s_xor_b64 s[2:3], exec, s[10:11]
; %bb.66:                               ;   in Loop: Header=BB61_8 Depth=1
	v_bfe_u32 v4, v3, 16, 1
	v_add3_u32 v4, v3, v4, s42
                                        ; implicit-def: $vgpr3
; %bb.67:                               ;   in Loop: Header=BB61_8 Depth=1
	s_andn2_saveexec_b64 s[10:11], s[2:3]
	s_cbranch_execz .LBB61_69
; %bb.68:                               ;   in Loop: Header=BB61_8 Depth=1
	scratch_load_dwordx2 v[6:7], off, off offset:1456 ; 8-byte Folded Reload
	v_or_b32_e32 v4, 0x10000, v3
	s_waitcnt vmcnt(0)
	v_cmp_eq_u32_sdwa s[2:3], v3, v7 src0_sel:WORD_0 src1_sel:DWORD
	s_nop 1
	v_cndmask_b32_e64 v4, v4, v3, s[2:3]
.LBB61_69:                              ;   in Loop: Header=BB61_8 Depth=1
	s_or_b64 exec, exec, s[10:11]
	global_store_short_d16_hi v[0:1], v4, off offset:12
.LBB61_70:                              ;   in Loop: Header=BB61_8 Depth=1
	s_or_b64 exec, exec, s[8:9]
	scratch_load_dwordx4 v[4:7], off, off offset:448
	s_waitcnt vmcnt(0)
	v_mul_f32_e32 v0, s23, v4
	v_mul_f32_e32 v1, s33, v0
	v_and_b32_e32 v0, 0x7f800000, v1
	v_cmp_ne_u32_e64 s[2:3], s41, v0
                                        ; implicit-def: $vgpr0
	s_and_saveexec_b64 s[8:9], s[2:3]
	s_xor_b64 s[2:3], exec, s[8:9]
; %bb.71:                               ;   in Loop: Header=BB61_8 Depth=1
	v_bfe_u32 v0, v1, 16, 1
	v_add3_u32 v0, v1, v0, s42
                                        ; implicit-def: $vgpr1
; %bb.72:                               ;   in Loop: Header=BB61_8 Depth=1
	s_andn2_saveexec_b64 s[8:9], s[2:3]
	s_cbranch_execz .LBB61_74
; %bb.73:                               ;   in Loop: Header=BB61_8 Depth=1
	scratch_load_dwordx2 v[4:5], off, off offset:1456 ; 8-byte Folded Reload
	v_or_b32_e32 v0, 0x10000, v1
	s_waitcnt vmcnt(0)
	v_cmp_eq_u32_sdwa s[2:3], v1, v5 src0_sel:WORD_0 src1_sel:DWORD
	s_nop 1
	v_cndmask_b32_e64 v0, v0, v1, s[2:3]
.LBB61_74:                              ;   in Loop: Header=BB61_8 Depth=1
	s_or_b64 exec, exec, s[8:9]
	scratch_load_dwordx2 v[4:5], off, off offset:1456 ; 8-byte Folded Reload
	s_waitcnt vmcnt(0)
	v_add_u32_e32 v4, s22, v20
	v_mov_b32_e32 v9, v5
	v_lshl_add_u64 v[4:5], v[4:5], 1, s[28:29]
	global_store_short_d16_hi v[4:5], v0, off
	s_and_saveexec_b64 s[8:9], vcc
	s_cbranch_execz .LBB61_105
; %bb.75:                               ;   in Loop: Header=BB61_8 Depth=1
	scratch_load_dwordx4 v[4:7], off, off offset:512
	s_waitcnt vmcnt(0)
	v_mul_f32_e32 v0, s23, v4
	v_mul_f32_e32 v1, s33, v0
	v_and_b32_e32 v0, 0x7f800000, v1
	v_cmp_ne_u32_e64 s[2:3], s41, v0
                                        ; implicit-def: $vgpr0
	s_and_saveexec_b64 s[10:11], s[2:3]
	s_xor_b64 s[2:3], exec, s[10:11]
; %bb.76:                               ;   in Loop: Header=BB61_8 Depth=1
	v_bfe_u32 v0, v1, 16, 1
	v_add3_u32 v0, v1, v0, s42
                                        ; implicit-def: $vgpr1
; %bb.77:                               ;   in Loop: Header=BB61_8 Depth=1
	s_andn2_saveexec_b64 s[10:11], s[2:3]
; %bb.78:                               ;   in Loop: Header=BB61_8 Depth=1
	v_or_b32_e32 v0, 0x10000, v1
	v_cmp_eq_u32_sdwa s[2:3], v1, v9 src0_sel:WORD_0 src1_sel:DWORD
	s_nop 1
	v_cndmask_b32_e64 v0, v0, v1, s[2:3]
; %bb.79:                               ;   in Loop: Header=BB61_8 Depth=1
	s_or_b64 exec, exec, s[10:11]
	v_mov_b32_e32 v5, v9
	v_add_u32_e32 v4, s22, v2
	v_lshl_add_u64 v[4:5], v[4:5], 1, s[28:29]
	global_store_short_d16_hi v[4:5], v0, off
	v_add_u32_e32 v0, 2, v20
	v_cmp_gt_u32_e64 s[2:3], s22, v0
	s_and_b64 exec, exec, s[2:3]
	s_cbranch_execz .LBB61_105
; %bb.80:                               ;   in Loop: Header=BB61_8 Depth=1
	scratch_load_dwordx4 v[4:7], off, off offset:576
	s_waitcnt vmcnt(0)
	v_mul_f32_e32 v1, s23, v4
	v_mul_f32_e32 v3, s33, v1
	v_and_b32_e32 v1, 0x7f800000, v3
	v_cmp_ne_u32_e64 s[2:3], s41, v1
                                        ; implicit-def: $vgpr1
	s_and_saveexec_b64 s[10:11], s[2:3]
	s_xor_b64 s[2:3], exec, s[10:11]
; %bb.81:                               ;   in Loop: Header=BB61_8 Depth=1
	v_bfe_u32 v1, v3, 16, 1
	v_add3_u32 v1, v3, v1, s42
                                        ; implicit-def: $vgpr3
; %bb.82:                               ;   in Loop: Header=BB61_8 Depth=1
	s_andn2_saveexec_b64 s[10:11], s[2:3]
; %bb.83:                               ;   in Loop: Header=BB61_8 Depth=1
	v_or_b32_e32 v1, 0x10000, v3
	v_cmp_eq_u32_sdwa s[2:3], v3, v9 src0_sel:WORD_0 src1_sel:DWORD
	s_nop 1
	v_cndmask_b32_e64 v1, v1, v3, s[2:3]
; %bb.84:                               ;   in Loop: Header=BB61_8 Depth=1
	s_or_b64 exec, exec, s[10:11]
	v_mov_b32_e32 v5, v9
	v_add_u32_e32 v4, s22, v0
	v_add_u32_e32 v0, 3, v20
	v_lshl_add_u64 v[4:5], v[4:5], 1, s[28:29]
	v_cmp_gt_u32_e64 s[2:3], s22, v0
	global_store_short_d16_hi v[4:5], v1, off
	s_and_b64 exec, exec, s[2:3]
	s_cbranch_execz .LBB61_105
; %bb.85:                               ;   in Loop: Header=BB61_8 Depth=1
	scratch_load_dwordx4 v[4:7], off, off offset:640
	s_waitcnt vmcnt(0)
	v_mul_f32_e32 v1, s23, v4
	v_mul_f32_e32 v3, s33, v1
	v_and_b32_e32 v1, 0x7f800000, v3
	v_cmp_ne_u32_e64 s[2:3], s41, v1
                                        ; implicit-def: $vgpr1
	s_and_saveexec_b64 s[10:11], s[2:3]
	s_xor_b64 s[2:3], exec, s[10:11]
; %bb.86:                               ;   in Loop: Header=BB61_8 Depth=1
	v_bfe_u32 v1, v3, 16, 1
	v_add3_u32 v1, v3, v1, s42
                                        ; implicit-def: $vgpr3
; %bb.87:                               ;   in Loop: Header=BB61_8 Depth=1
	s_andn2_saveexec_b64 s[10:11], s[2:3]
; %bb.88:                               ;   in Loop: Header=BB61_8 Depth=1
	v_or_b32_e32 v1, 0x10000, v3
	v_cmp_eq_u32_sdwa s[2:3], v3, v9 src0_sel:WORD_0 src1_sel:DWORD
	s_nop 1
	v_cndmask_b32_e64 v1, v1, v3, s[2:3]
; %bb.89:                               ;   in Loop: Header=BB61_8 Depth=1
	s_or_b64 exec, exec, s[10:11]
	v_mov_b32_e32 v5, v9
	v_add_u32_e32 v4, s22, v0
	v_add_u32_e32 v0, 4, v20
	v_lshl_add_u64 v[4:5], v[4:5], 1, s[28:29]
	v_cmp_gt_u32_e64 s[2:3], s22, v0
	global_store_short_d16_hi v[4:5], v1, off
	;; [unrolled: 31-line block ×4, first 2 shown]
	s_and_b64 exec, exec, s[2:3]
	s_cbranch_execz .LBB61_105
; %bb.100:                              ;   in Loop: Header=BB61_8 Depth=1
	scratch_load_dwordx4 v[4:7], off, off offset:832
	s_waitcnt vmcnt(0)
	v_mul_f32_e32 v1, s23, v4
	v_mul_f32_e32 v3, s33, v1
	v_and_b32_e32 v1, 0x7f800000, v3
	v_cmp_ne_u32_e64 s[2:3], s41, v1
                                        ; implicit-def: $vgpr1
	s_and_saveexec_b64 s[10:11], s[2:3]
	s_xor_b64 s[2:3], exec, s[10:11]
; %bb.101:                              ;   in Loop: Header=BB61_8 Depth=1
	v_bfe_u32 v1, v3, 16, 1
	v_add3_u32 v1, v3, v1, s42
                                        ; implicit-def: $vgpr3
; %bb.102:                              ;   in Loop: Header=BB61_8 Depth=1
	s_andn2_saveexec_b64 s[10:11], s[2:3]
; %bb.103:                              ;   in Loop: Header=BB61_8 Depth=1
	v_or_b32_e32 v1, 0x10000, v3
	v_cmp_eq_u32_sdwa s[2:3], v3, v9 src0_sel:WORD_0 src1_sel:DWORD
	s_nop 1
	v_cndmask_b32_e64 v1, v1, v3, s[2:3]
; %bb.104:                              ;   in Loop: Header=BB61_8 Depth=1
	s_or_b64 exec, exec, s[10:11]
	v_mov_b32_e32 v5, v9
	v_add_u32_e32 v4, s22, v0
	v_lshl_add_u64 v[4:5], v[4:5], 1, s[28:29]
	global_store_short_d16_hi v[4:5], v1, off
.LBB61_105:                             ;   in Loop: Header=BB61_8 Depth=1
	s_or_b64 exec, exec, s[8:9]
	scratch_load_dwordx4 v[4:7], off, off offset:896
	s_waitcnt vmcnt(0)
	v_mul_f32_e32 v0, s23, v4
	v_mul_f32_e32 v1, s33, v0
	v_and_b32_e32 v0, 0x7f800000, v1
	v_cmp_ne_u32_e64 s[2:3], s41, v0
                                        ; implicit-def: $vgpr0
	s_and_saveexec_b64 s[8:9], s[2:3]
	s_xor_b64 s[2:3], exec, s[8:9]
; %bb.106:                              ;   in Loop: Header=BB61_8 Depth=1
	v_bfe_u32 v0, v1, 16, 1
	v_add3_u32 v0, v1, v0, s42
                                        ; implicit-def: $vgpr1
; %bb.107:                              ;   in Loop: Header=BB61_8 Depth=1
	s_andn2_saveexec_b64 s[8:9], s[2:3]
; %bb.108:                              ;   in Loop: Header=BB61_8 Depth=1
	v_or_b32_e32 v0, 0x10000, v1
	v_cmp_eq_u32_sdwa s[2:3], v1, v9 src0_sel:WORD_0 src1_sel:DWORD
	s_nop 1
	v_cndmask_b32_e64 v0, v0, v1, s[2:3]
; %bb.109:                              ;   in Loop: Header=BB61_8 Depth=1
	s_or_b64 exec, exec, s[8:9]
	v_add_u32_e32 v8, s39, v20
	v_mov_b32_e32 v1, v9
	v_lshl_add_u64 v[4:5], v[8:9], 1, s[28:29]
	scratch_store_dwordx2 off, v[0:1], off offset:1456 ; 8-byte Folded Spill
	global_store_short_d16_hi v[4:5], v0, off
	s_and_b64 exec, exec, vcc
	s_cbranch_execz .LBB61_7
; %bb.110:                              ;   in Loop: Header=BB61_8 Depth=1
	scratch_load_dwordx4 v[4:7], off, off offset:960
	s_waitcnt vmcnt(0)
	v_mul_f32_e32 v0, s23, v4
	v_mul_f32_e32 v1, s33, v0
	v_and_b32_e32 v0, 0x7f800000, v1
	v_cmp_ne_u32_e32 vcc, s41, v0
                                        ; implicit-def: $vgpr0
	s_and_saveexec_b64 s[2:3], vcc
	s_xor_b64 s[2:3], exec, s[2:3]
; %bb.111:                              ;   in Loop: Header=BB61_8 Depth=1
	v_bfe_u32 v0, v1, 16, 1
	v_add3_u32 v0, v1, v0, s42
                                        ; implicit-def: $vgpr1
; %bb.112:                              ;   in Loop: Header=BB61_8 Depth=1
	s_andn2_saveexec_b64 s[2:3], s[2:3]
	s_cbranch_execz .LBB61_114
; %bb.113:                              ;   in Loop: Header=BB61_8 Depth=1
	scratch_load_dwordx2 v[4:5], off, off offset:1456 ; 8-byte Folded Reload
	v_or_b32_e32 v0, 0x10000, v1
	s_waitcnt vmcnt(0)
	v_cmp_eq_u32_sdwa vcc, v1, v5 src0_sel:WORD_0 src1_sel:DWORD
	s_nop 1
	v_cndmask_b32_e32 v0, v0, v1, vcc
.LBB61_114:                             ;   in Loop: Header=BB61_8 Depth=1
	s_or_b64 exec, exec, s[2:3]
	scratch_load_dwordx2 v[4:5], off, off offset:1456 ; 8-byte Folded Reload
	v_add_u32_e32 v2, s39, v2
	s_waitcnt vmcnt(0)
	v_mov_b32_e32 v3, v5
	v_mov_b32_e32 v1, v5
	v_lshl_add_u64 v[2:3], v[2:3], 1, s[28:29]
	scratch_store_dwordx2 off, v[0:1], off offset:1456 ; 8-byte Folded Spill
	global_store_short_d16_hi v[2:3], v0, off
	v_add_u32_e32 v0, 2, v20
	v_cmp_gt_u32_e32 vcc, s22, v0
	s_and_b64 exec, exec, vcc
	s_cbranch_execz .LBB61_7
; %bb.115:                              ;   in Loop: Header=BB61_8 Depth=1
	scratch_load_dwordx4 v[2:5], off, off offset:1024
	s_waitcnt vmcnt(0)
	v_mul_f32_e32 v1, s23, v2
	v_mul_f32_e32 v2, s33, v1
	v_and_b32_e32 v1, 0x7f800000, v2
	v_cmp_ne_u32_e32 vcc, s41, v1
                                        ; implicit-def: $vgpr1
	s_and_saveexec_b64 s[2:3], vcc
	s_xor_b64 s[2:3], exec, s[2:3]
; %bb.116:                              ;   in Loop: Header=BB61_8 Depth=1
	v_bfe_u32 v1, v2, 16, 1
	v_add3_u32 v1, v2, v1, s42
                                        ; implicit-def: $vgpr2
; %bb.117:                              ;   in Loop: Header=BB61_8 Depth=1
	s_andn2_saveexec_b64 s[2:3], s[2:3]
	s_cbranch_execz .LBB61_119
; %bb.118:                              ;   in Loop: Header=BB61_8 Depth=1
	scratch_load_dwordx2 v[4:5], off, off offset:1456 ; 8-byte Folded Reload
	v_or_b32_e32 v1, 0x10000, v2
	s_waitcnt vmcnt(0)
	v_cmp_eq_u32_sdwa vcc, v2, v5 src0_sel:WORD_0 src1_sel:DWORD
	s_nop 1
	v_cndmask_b32_e32 v1, v1, v2, vcc
.LBB61_119:                             ;   in Loop: Header=BB61_8 Depth=1
	s_or_b64 exec, exec, s[2:3]
	scratch_load_dwordx2 v[2:3], off, off offset:1456 ; 8-byte Folded Reload
	v_add_u32_e32 v4, s39, v0
	v_add_u32_e32 v0, 3, v20
	v_cmp_gt_u32_e32 vcc, s22, v0
	s_waitcnt vmcnt(0)
	v_mov_b32_e32 v5, v3
	scratch_store_dwordx2 off, v[2:3], off offset:1456 ; 8-byte Folded Spill
	v_lshl_add_u64 v[2:3], v[4:5], 1, s[28:29]
	global_store_short_d16_hi v[2:3], v1, off
	s_and_b64 exec, exec, vcc
	s_cbranch_execz .LBB61_7
; %bb.120:                              ;   in Loop: Header=BB61_8 Depth=1
	scratch_load_dwordx4 v[2:5], off, off offset:1088
	s_waitcnt vmcnt(0)
	v_mul_f32_e32 v1, s23, v2
	v_mul_f32_e32 v2, s33, v1
	v_and_b32_e32 v1, 0x7f800000, v2
	v_cmp_ne_u32_e32 vcc, s41, v1
                                        ; implicit-def: $vgpr1
	s_and_saveexec_b64 s[2:3], vcc
	s_xor_b64 s[2:3], exec, s[2:3]
; %bb.121:                              ;   in Loop: Header=BB61_8 Depth=1
	v_bfe_u32 v1, v2, 16, 1
	v_add3_u32 v1, v2, v1, s42
                                        ; implicit-def: $vgpr2
; %bb.122:                              ;   in Loop: Header=BB61_8 Depth=1
	s_andn2_saveexec_b64 s[2:3], s[2:3]
	s_cbranch_execz .LBB61_124
; %bb.123:                              ;   in Loop: Header=BB61_8 Depth=1
	scratch_load_dwordx2 v[4:5], off, off offset:1456 ; 8-byte Folded Reload
	v_or_b32_e32 v1, 0x10000, v2
	s_waitcnt vmcnt(0)
	v_cmp_eq_u32_sdwa vcc, v2, v5 src0_sel:WORD_0 src1_sel:DWORD
	s_nop 1
	v_cndmask_b32_e32 v1, v1, v2, vcc
.LBB61_124:                             ;   in Loop: Header=BB61_8 Depth=1
	s_or_b64 exec, exec, s[2:3]
	scratch_load_dwordx2 v[2:3], off, off offset:1456 ; 8-byte Folded Reload
	v_add_u32_e32 v4, s39, v0
	v_add_u32_e32 v0, 4, v20
	v_cmp_gt_u32_e32 vcc, s22, v0
	s_waitcnt vmcnt(0)
	v_mov_b32_e32 v5, v3
	scratch_store_dwordx2 off, v[2:3], off offset:1456 ; 8-byte Folded Spill
	v_lshl_add_u64 v[2:3], v[4:5], 1, s[28:29]
	global_store_short_d16_hi v[2:3], v1, off
	;; [unrolled: 37-line block ×4, first 2 shown]
	s_and_b64 exec, exec, vcc
	s_cbranch_execz .LBB61_7
; %bb.135:                              ;   in Loop: Header=BB61_8 Depth=1
	scratch_load_dwordx4 v[2:5], off, off offset:1280
	s_waitcnt vmcnt(0)
	v_mul_f32_e32 v1, s23, v2
	v_mul_f32_e32 v2, s33, v1
	v_and_b32_e32 v1, 0x7f800000, v2
	v_cmp_ne_u32_e32 vcc, s41, v1
                                        ; implicit-def: $vgpr1
	s_and_saveexec_b64 s[2:3], vcc
	s_xor_b64 s[2:3], exec, s[2:3]
; %bb.136:                              ;   in Loop: Header=BB61_8 Depth=1
	v_bfe_u32 v1, v2, 16, 1
	v_add3_u32 v1, v2, v1, s42
                                        ; implicit-def: $vgpr2
; %bb.137:                              ;   in Loop: Header=BB61_8 Depth=1
	s_andn2_saveexec_b64 s[2:3], s[2:3]
	s_cbranch_execz .LBB61_6
; %bb.138:                              ;   in Loop: Header=BB61_8 Depth=1
	scratch_load_dwordx2 v[4:5], off, off offset:1456 ; 8-byte Folded Reload
	v_or_b32_e32 v1, 0x10000, v2
	s_waitcnt vmcnt(0)
	v_cmp_eq_u32_sdwa vcc, v2, v5 src0_sel:WORD_0 src1_sel:DWORD
	s_nop 1
	v_cndmask_b32_e32 v1, v1, v2, vcc
	s_branch .LBB61_6
.LBB61_139:
	s_endpgm
	.section	.rodata,"a",@progbits
	.p2align	6, 0x0
	.amdhsa_kernel _Z13wvSplitKQ_hf_I14__hip_bfloat16N3c1015Float8_e4m3fnuzELi64ELi7ELi16ELi16ELi1ELi3EEviiiPKT0_S5_PT_PKfS9_ii
		.amdhsa_group_segment_fixed_size 65536
		.amdhsa_private_segment_fixed_size 2944
		.amdhsa_kernarg_size 64
		.amdhsa_user_sgpr_count 2
		.amdhsa_user_sgpr_dispatch_ptr 0
		.amdhsa_user_sgpr_queue_ptr 0
		.amdhsa_user_sgpr_kernarg_segment_ptr 1
		.amdhsa_user_sgpr_dispatch_id 0
		.amdhsa_user_sgpr_kernarg_preload_length 0
		.amdhsa_user_sgpr_kernarg_preload_offset 0
		.amdhsa_user_sgpr_private_segment_size 0
		.amdhsa_uses_dynamic_stack 0
		.amdhsa_enable_private_segment 1
		.amdhsa_system_sgpr_workgroup_id_x 1
		.amdhsa_system_sgpr_workgroup_id_y 0
		.amdhsa_system_sgpr_workgroup_id_z 0
		.amdhsa_system_sgpr_workgroup_info 0
		.amdhsa_system_vgpr_workitem_id 1
		.amdhsa_next_free_vgpr 128
		.amdhsa_next_free_sgpr 44
		.amdhsa_accum_offset 128
		.amdhsa_reserve_vcc 1
		.amdhsa_float_round_mode_32 0
		.amdhsa_float_round_mode_16_64 0
		.amdhsa_float_denorm_mode_32 3
		.amdhsa_float_denorm_mode_16_64 3
		.amdhsa_dx10_clamp 1
		.amdhsa_ieee_mode 1
		.amdhsa_fp16_overflow 0
		.amdhsa_tg_split 0
		.amdhsa_exception_fp_ieee_invalid_op 0
		.amdhsa_exception_fp_denorm_src 0
		.amdhsa_exception_fp_ieee_div_zero 0
		.amdhsa_exception_fp_ieee_overflow 0
		.amdhsa_exception_fp_ieee_underflow 0
		.amdhsa_exception_fp_ieee_inexact 0
		.amdhsa_exception_int_div_zero 0
	.end_amdhsa_kernel
	.section	.text._Z13wvSplitKQ_hf_I14__hip_bfloat16N3c1015Float8_e4m3fnuzELi64ELi7ELi16ELi16ELi1ELi3EEviiiPKT0_S5_PT_PKfS9_ii,"axG",@progbits,_Z13wvSplitKQ_hf_I14__hip_bfloat16N3c1015Float8_e4m3fnuzELi64ELi7ELi16ELi16ELi1ELi3EEviiiPKT0_S5_PT_PKfS9_ii,comdat
.Lfunc_end61:
	.size	_Z13wvSplitKQ_hf_I14__hip_bfloat16N3c1015Float8_e4m3fnuzELi64ELi7ELi16ELi16ELi1ELi3EEviiiPKT0_S5_PT_PKfS9_ii, .Lfunc_end61-_Z13wvSplitKQ_hf_I14__hip_bfloat16N3c1015Float8_e4m3fnuzELi64ELi7ELi16ELi16ELi1ELi3EEviiiPKT0_S5_PT_PKfS9_ii
                                        ; -- End function
	.section	.AMDGPU.csdata,"",@progbits
; Kernel info:
; codeLenInByte = 10148
; NumSgprs: 50
; NumVgprs: 128
; NumAgprs: 0
; TotalNumVgprs: 128
; ScratchSize: 2944
; MemoryBound: 1
; FloatMode: 240
; IeeeMode: 1
; LDSByteSize: 65536 bytes/workgroup (compile time only)
; SGPRBlocks: 6
; VGPRBlocks: 15
; NumSGPRsForWavesPerEU: 50
; NumVGPRsForWavesPerEU: 128
; AccumOffset: 128
; Occupancy: 4
; WaveLimiterHint : 1
; COMPUTE_PGM_RSRC2:SCRATCH_EN: 1
; COMPUTE_PGM_RSRC2:USER_SGPR: 2
; COMPUTE_PGM_RSRC2:TRAP_HANDLER: 0
; COMPUTE_PGM_RSRC2:TGID_X_EN: 1
; COMPUTE_PGM_RSRC2:TGID_Y_EN: 0
; COMPUTE_PGM_RSRC2:TGID_Z_EN: 0
; COMPUTE_PGM_RSRC2:TIDIG_COMP_CNT: 1
; COMPUTE_PGM_RSRC3_GFX90A:ACCUM_OFFSET: 31
; COMPUTE_PGM_RSRC3_GFX90A:TG_SPLIT: 0
	.section	.text._Z17wvSplitKQ_hf_sml_I14__hip_bfloat16N3c1015Float8_e4m3fnuzELi64ELi4ELi16ELi16ELi1ELi4EEviiiPKT0_S5_PT_PKfS9_ii,"axG",@progbits,_Z17wvSplitKQ_hf_sml_I14__hip_bfloat16N3c1015Float8_e4m3fnuzELi64ELi4ELi16ELi16ELi1ELi4EEviiiPKT0_S5_PT_PKfS9_ii,comdat
	.protected	_Z17wvSplitKQ_hf_sml_I14__hip_bfloat16N3c1015Float8_e4m3fnuzELi64ELi4ELi16ELi16ELi1ELi4EEviiiPKT0_S5_PT_PKfS9_ii ; -- Begin function _Z17wvSplitKQ_hf_sml_I14__hip_bfloat16N3c1015Float8_e4m3fnuzELi64ELi4ELi16ELi16ELi1ELi4EEviiiPKT0_S5_PT_PKfS9_ii
	.globl	_Z17wvSplitKQ_hf_sml_I14__hip_bfloat16N3c1015Float8_e4m3fnuzELi64ELi4ELi16ELi16ELi1ELi4EEviiiPKT0_S5_PT_PKfS9_ii
	.p2align	8
	.type	_Z17wvSplitKQ_hf_sml_I14__hip_bfloat16N3c1015Float8_e4m3fnuzELi64ELi4ELi16ELi16ELi1ELi4EEviiiPKT0_S5_PT_PKfS9_ii,@function
_Z17wvSplitKQ_hf_sml_I14__hip_bfloat16N3c1015Float8_e4m3fnuzELi64ELi4ELi16ELi16ELi1ELi4EEviiiPKT0_S5_PT_PKfS9_ii: ; @_Z17wvSplitKQ_hf_sml_I14__hip_bfloat16N3c1015Float8_e4m3fnuzELi64ELi4ELi16ELi16ELi1ELi4EEviiiPKT0_S5_PT_PKfS9_ii
; %bb.0:
	s_load_dwordx4 s[4:7], s[0:1], 0x0
	s_load_dwordx4 s[8:11], s[0:1], 0x28
	v_bfe_u32 v1, v0, 10, 10
	v_and_b32_e32 v0, 0x3ff, v0
	v_lshlrev_b32_e32 v104, 4, v0
	s_waitcnt lgkmcnt(0)
	s_lshl_b32 s3, s4, 2
	v_lshl_add_u32 v2, v1, 10, v104
	s_min_i32 s3, s3, 0x10000
	v_cmp_gt_u32_e32 vcc, s3, v2
	s_and_saveexec_b64 s[12:13], vcc
	s_cbranch_execz .LBB62_3
; %bb.1:
	s_load_dwordx2 s[14:15], s[0:1], 0x18
	s_mov_b64 s[16:17], 0
.LBB62_2:                               ; =>This Inner Loop Header: Depth=1
	s_waitcnt lgkmcnt(0)
	global_load_dwordx4 v[4:7], v2, s[14:15]
	s_waitcnt vmcnt(0)
	ds_write_b128 v2, v[4:7]
	v_add_u32_e32 v2, 0x4000, v2
	v_cmp_le_u32_e32 vcc, s3, v2
	s_or_b64 s[16:17], vcc, s[16:17]
	s_andn2_b64 exec, exec, s[16:17]
	s_cbranch_execnz .LBB62_2
.LBB62_3:
	s_or_b64 exec, exec, s[12:13]
	s_load_dwordx2 s[14:15], s[0:1], 0x38
	s_waitcnt lgkmcnt(0)
	s_barrier
	v_cmp_gt_u32_e32 vcc, s14, v1
	s_and_saveexec_b64 s[12:13], vcc
	s_cbranch_execz .LBB62_81
; %bb.4:
	s_mul_i32 s2, s2, s14
	v_add_u32_e32 v1, s2, v1
	v_lshlrev_b32_e32 v12, 2, v1
	v_cmp_gt_u32_e32 vcc, s6, v12
	s_and_b64 exec, exec, vcc
	s_cbranch_execz .LBB62_81
; %bb.5:
	s_mul_i32 s20, s14, s15
	s_cmp_lg_u32 s4, 0
	s_load_dword s7, s[8:9], 0x0
	s_load_dword s24, s[10:11], 0x0
	s_load_dwordx2 s[2:3], s[0:1], 0x10
	s_load_dwordx2 s[12:13], s[0:1], 0x20
	s_mov_b32 s9, 0
	s_cselect_b64 s[10:11], -1, 0
	s_lshl_b32 s25, s20, 2
	s_mul_i32 s20, s20, s5
	v_cmp_eq_u32_e64 s[0:1], 0, v0
	s_mov_b32 s8, s5
	s_lshl_b32 s14, s5, 1
	s_mul_i32 s16, s5, 3
	v_mul_lo_u32 v0, s5, v1
	s_lshl_b32 s5, s20, 2
	s_mov_b32 s20, s9
	s_mov_b32 s21, s9
	v_lshl_add_u32 v110, v0, 2, v104
	s_mov_b32 s22, s9
	s_mov_b32 s23, s9
	v_mov_b64_e32 v[0:1], s[20:21]
	v_mov_b64_e32 v[2:3], s[22:23]
	scratch_store_dwordx4 off, v[0:3], off offset:1928 ; 16-byte Folded Spill
	v_mad_u64_u32 v[108:109], s[18:19], s4, 3, v[104:105]
	s_nop 0
	v_mbcnt_lo_u32_b32 v0, -1, 0
	v_mbcnt_hi_u32_b32 v0, -1, v0
	v_lshlrev_b32_e32 v0, 2, v0
	s_mov_b32 s15, s9
	s_mov_b32 s17, s9
	v_lshl_add_u32 v105, s4, 1, v104
	v_add_u32_e32 v109, s4, v104
	s_mov_b64 s[18:19], 0
	v_mov_b32_e32 v107, 0
	v_and_b32_e32 v120, 0x100, v0
	s_mov_b32 s26, 0x7f800000
	s_movk_i32 s27, 0x7fff
	scratch_store_dword off, v120, off offset:1944 ; 4-byte Folded Spill
	s_branch .LBB62_8
.LBB62_6:                               ;   in Loop: Header=BB62_8 Depth=1
	s_or_b64 exec, exec, s[22:23]
	v_add_u32_e32 v106, 3, v106
	v_lshl_add_u64 v[2:3], v[106:107], 1, s[12:13]
	global_store_short_d16_hi v[2:3], v0, off
.LBB62_7:                               ;   in Loop: Header=BB62_8 Depth=1
	s_or_b64 exec, exec, s[20:21]
	s_waitcnt vmcnt(0)
	v_add_u32_e32 v12, s25, v12
	v_cmp_le_u32_e32 vcc, s6, v12
	s_or_b64 s[18:19], vcc, s[18:19]
	v_add_u32_e32 v110, s5, v110
	s_andn2_b64 exec, exec, s[18:19]
	s_cbranch_execz .LBB62_81
.LBB62_8:                               ; =>This Loop Header: Depth=1
                                        ;     Child Loop BB62_11 Depth 2
                                        ;     Child Loop BB62_15 Depth 2
	scratch_load_dwordx4 v[0:3], off, off offset:1928 ; 16-byte Folded Reload
	s_and_b64 vcc, exec, s[10:11]
	scratch_store_dwordx2 off, v[12:13], off offset:1920 ; 8-byte Folded Spill
	s_waitcnt vmcnt(1)
	scratch_store_dwordx4 off, v[0:3], off offset:48
	scratch_store_dwordx4 off, v[0:3], off offset:32
	;; [unrolled: 1-line block ×3, first 2 shown]
	scratch_store_dwordx4 off, v[0:3], off
	scratch_store_dwordx4 off, v[0:3], off offset:304
	scratch_store_dwordx4 off, v[0:3], off offset:288
	;; [unrolled: 1-line block ×60, first 2 shown]
	s_cbranch_vccz .LBB62_14
; %bb.9:                                ;   in Loop: Header=BB62_8 Depth=1
	v_mov_b32_e32 v112, 0
	v_mov_b32_e32 v0, v112
	v_mov_b32_e32 v1, v112
	v_mov_b32_e32 v2, v112
	v_mov_b32_e32 v3, v112
	v_mov_b32_e32 v4, v112
	v_mov_b32_e32 v5, v112
	v_mov_b32_e32 v6, v112
	v_mov_b32_e32 v7, v112
	v_mov_b32_e32 v8, v112
	v_mov_b32_e32 v9, v112
	v_mov_b32_e32 v10, v112
	v_mov_b32_e32 v11, v112
	v_mov_b32_e32 v12, v112
	v_mov_b32_e32 v13, v112
	v_mov_b32_e32 v14, v112
	v_mov_b32_e32 v15, v112
	v_mov_b32_e32 v58, v112
	v_mov_b32_e32 v59, v112
	v_mov_b32_e32 v60, v112
	v_mov_b32_e32 v61, v112
	v_mov_b32_e32 v62, v112
	v_mov_b32_e32 v63, v112
	v_mov_b32_e32 v64, v112
	v_mov_b32_e32 v65, v112
	v_mov_b32_e32 v66, v112
	v_mov_b32_e32 v67, v112
	v_mov_b32_e32 v68, v112
	v_mov_b32_e32 v69, v112
	v_mov_b32_e32 v70, v112
	v_mov_b32_e32 v71, v112
	v_mov_b32_e32 v72, v112
	v_mov_b32_e32 v73, v112
	scratch_store_dwordx4 off, v[0:3], off offset:1472 ; 16-byte Folded Spill
	s_nop 0
	scratch_store_dwordx4 off, v[4:7], off offset:1488 ; 16-byte Folded Spill
	scratch_store_dwordx4 off, v[8:11], off offset:1504 ; 16-byte Folded Spill
	scratch_store_dwordx4 off, v[12:15], off offset:1520 ; 16-byte Folded Spill
	scratch_store_dwordx4 off, v[0:3], off offset:1600 ; 16-byte Folded Spill
	s_nop 0
	scratch_store_dwordx4 off, v[4:7], off offset:1616 ; 16-byte Folded Spill
	scratch_store_dwordx4 off, v[8:11], off offset:1632 ; 16-byte Folded Spill
	scratch_store_dwordx4 off, v[12:15], off offset:1648 ; 16-byte Folded Spill
	;; [unrolled: 5-line block ×6, first 2 shown]
	s_mov_b32 s22, 0
	v_mov_b32_e32 v113, v112
	v_mov_b32_e32 v114, v112
	;; [unrolled: 1-line block ×49, first 2 shown]
	scratch_store_dwordx4 off, v[60:63], off offset:1216 ; 16-byte Folded Spill
	s_nop 0
	scratch_store_dwordx4 off, v[64:67], off offset:1232 ; 16-byte Folded Spill
	scratch_store_dwordx4 off, v[68:71], off offset:1248 ; 16-byte Folded Spill
	scratch_store_dwordx4 off, v[72:75], off offset:1264 ; 16-byte Folded Spill
	scratch_store_dwordx4 off, v[40:43], off offset:1280 ; 16-byte Folded Spill
	s_nop 0
	scratch_store_dwordx4 off, v[44:47], off offset:1296 ; 16-byte Folded Spill
	scratch_store_dwordx4 off, v[48:51], off offset:1312 ; 16-byte Folded Spill
	scratch_store_dwordx4 off, v[52:55], off offset:1328 ; 16-byte Folded Spill
	scratch_store_dwordx4 off, v[40:43], off offset:1344 ; 16-byte Folded Spill
	s_nop 0
	scratch_store_dwordx4 off, v[44:47], off offset:1360 ; 16-byte Folded Spill
	scratch_store_dwordx4 off, v[48:51], off offset:1376 ; 16-byte Folded Spill
	scratch_store_dwordx4 off, v[52:55], off offset:1392 ; 16-byte Folded Spill
	scratch_store_dwordx4 off, v[40:43], off offset:1408 ; 16-byte Folded Spill
	s_nop 0
	scratch_store_dwordx4 off, v[44:47], off offset:1424 ; 16-byte Folded Spill
	scratch_store_dwordx4 off, v[48:51], off offset:1440 ; 16-byte Folded Spill
	scratch_store_dwordx4 off, v[52:55], off offset:1456 ; 16-byte Folded Spill
	scratch_store_dwordx4 off, v[40:43], off offset:1536 ; 16-byte Folded Spill
	s_nop 0
	scratch_store_dwordx4 off, v[44:47], off offset:1552 ; 16-byte Folded Spill
	scratch_store_dwordx4 off, v[48:51], off offset:1568 ; 16-byte Folded Spill
	scratch_store_dwordx4 off, v[52:55], off offset:1584 ; 16-byte Folded Spill
	scratch_store_dwordx4 off, v[40:43], off offset:1664 ; 16-byte Folded Spill
	s_nop 0
	scratch_store_dwordx4 off, v[44:47], off offset:1680 ; 16-byte Folded Spill
	scratch_store_dwordx4 off, v[48:51], off offset:1696 ; 16-byte Folded Spill
	scratch_store_dwordx4 off, v[52:55], off offset:1712 ; 16-byte Folded Spill
	scratch_store_dwordx4 off, v[40:43], off offset:1792 ; 16-byte Folded Spill
	s_nop 0
	scratch_store_dwordx4 off, v[44:47], off offset:1808 ; 16-byte Folded Spill
	scratch_store_dwordx4 off, v[48:51], off offset:1824 ; 16-byte Folded Spill
	scratch_store_dwordx4 off, v[52:55], off offset:1840 ; 16-byte Folded Spill
	s_branch .LBB62_11
.LBB62_10:                              ;   in Loop: Header=BB62_11 Depth=2
	s_or_b64 exec, exec, s[20:21]
	scratch_load_dwordx4 v[80:83], off, off offset:1728 ; 16-byte Folded Reload
	scratch_load_dwordx4 v[84:87], off, off offset:1744 ; 16-byte Folded Reload
	;; [unrolled: 1-line block ×12, first 2 shown]
	s_waitcnt vmcnt(15) lgkmcnt(0)
	v_mfma_f32_32x32x16_fp8_fp8 v[0:15], v[44:45], v[32:33], v[0:15]
	s_addk_i32 s22, 0x400
	s_cmp_ge_u32 s22, s4
	v_mfma_f32_32x32x16_fp8_fp8 v[0:15], v[46:47], v[34:35], v[0:15]
	v_mfma_f32_32x32x16_fp8_fp8 v[112:127], v[40:41], v[32:33], v[112:127]
	;; [unrolled: 1-line block ×3, first 2 shown]
	s_waitcnt vmcnt(8)
	v_mfma_f32_32x32x16_fp8_fp8 v[80:95], v[44:45], v[28:29], v[80:95]
	s_waitcnt vmcnt(4)
	v_mfma_f32_32x32x16_fp8_fp8 v[64:79], v[44:45], v[24:25], v[64:79]
	;; [unrolled: 2-line block ×3, first 2 shown]
	v_mfma_f32_32x32x16_fp8_fp8 v[80:95], v[46:47], v[30:31], v[80:95]
	s_nop 7
	s_nop 2
	scratch_store_dwordx4 off, v[80:83], off offset:1728 ; 16-byte Folded Spill
	s_nop 0
	scratch_store_dwordx4 off, v[84:87], off offset:1744 ; 16-byte Folded Spill
	scratch_store_dwordx4 off, v[88:91], off offset:1760 ; 16-byte Folded Spill
	scratch_store_dwordx4 off, v[92:95], off offset:1776 ; 16-byte Folded Spill
	v_mfma_f32_32x32x16_fp8_fp8 v[64:79], v[46:47], v[26:27], v[64:79]
	s_nop 7
	s_nop 2
	scratch_store_dwordx4 off, v[64:67], off offset:1600 ; 16-byte Folded Spill
	s_nop 0
	scratch_store_dwordx4 off, v[68:71], off offset:1616 ; 16-byte Folded Spill
	scratch_store_dwordx4 off, v[72:75], off offset:1632 ; 16-byte Folded Spill
	scratch_store_dwordx4 off, v[76:79], off offset:1648 ; 16-byte Folded Spill
	;; [unrolled: 8-line block ×3, first 2 shown]
	scratch_load_dwordx4 v[76:79], off, off offset:1792 ; 16-byte Folded Reload
	scratch_load_dwordx4 v[80:83], off, off offset:1808 ; 16-byte Folded Reload
	;; [unrolled: 1-line block ×4, first 2 shown]
	s_nop 0
	scratch_load_dwordx4 v[60:63], off, off offset:1664 ; 16-byte Folded Reload
	scratch_load_dwordx4 v[64:67], off, off offset:1680 ; 16-byte Folded Reload
	;; [unrolled: 1-line block ×8, first 2 shown]
	s_waitcnt vmcnt(8)
	v_mfma_f32_32x32x16_fp8_fp8 v[76:91], v[40:41], v[28:29], v[76:91]
	s_waitcnt vmcnt(4)
	v_mfma_f32_32x32x16_fp8_fp8 v[60:75], v[40:41], v[24:25], v[60:75]
	;; [unrolled: 2-line block ×3, first 2 shown]
	v_mfma_f32_32x32x16_fp8_fp8 v[76:91], v[42:43], v[30:31], v[76:91]
	s_nop 7
	s_nop 2
	scratch_store_dwordx4 off, v[76:79], off offset:1792 ; 16-byte Folded Spill
	s_nop 0
	scratch_store_dwordx4 off, v[80:83], off offset:1808 ; 16-byte Folded Spill
	scratch_store_dwordx4 off, v[84:87], off offset:1824 ; 16-byte Folded Spill
	scratch_store_dwordx4 off, v[88:91], off offset:1840 ; 16-byte Folded Spill
	v_mfma_f32_32x32x16_fp8_fp8 v[60:75], v[42:43], v[26:27], v[60:75]
	s_nop 7
	s_nop 2
	scratch_store_dwordx4 off, v[60:63], off offset:1664 ; 16-byte Folded Spill
	s_nop 0
	scratch_store_dwordx4 off, v[64:67], off offset:1680 ; 16-byte Folded Spill
	scratch_store_dwordx4 off, v[68:71], off offset:1696 ; 16-byte Folded Spill
	scratch_store_dwordx4 off, v[72:75], off offset:1712 ; 16-byte Folded Spill
	;; [unrolled: 8-line block ×3, first 2 shown]
	scratch_load_dwordx4 v[88:91], off, off offset:1408 ; 16-byte Folded Reload
	scratch_load_dwordx4 v[92:95], off, off offset:1424 ; 16-byte Folded Reload
	scratch_load_dwordx4 v[96:99], off, off offset:1440 ; 16-byte Folded Reload
	scratch_load_dwordx4 v[100:103], off, off offset:1456 ; 16-byte Folded Reload
	scratch_load_dwordx4 v[72:75], off, off offset:1344 ; 16-byte Folded Reload
	scratch_load_dwordx4 v[76:79], off, off offset:1360 ; 16-byte Folded Reload
	scratch_load_dwordx4 v[80:83], off, off offset:1376 ; 16-byte Folded Reload
	scratch_load_dwordx4 v[84:87], off, off offset:1392 ; 16-byte Folded Reload
	scratch_load_dwordx4 v[56:59], off, off offset:1280 ; 16-byte Folded Reload
	scratch_load_dwordx4 v[60:63], off, off offset:1296 ; 16-byte Folded Reload
	scratch_load_dwordx4 v[64:67], off, off offset:1312 ; 16-byte Folded Reload
	scratch_load_dwordx4 v[68:71], off, off offset:1328 ; 16-byte Folded Reload
	scratch_load_dwordx4 v[40:43], off, off offset:1216 ; 16-byte Folded Reload
	scratch_load_dwordx4 v[44:47], off, off offset:1232 ; 16-byte Folded Reload
	scratch_load_dwordx4 v[48:51], off, off offset:1248 ; 16-byte Folded Reload
	scratch_load_dwordx4 v[52:55], off, off offset:1264 ; 16-byte Folded Reload
	s_waitcnt vmcnt(12)
	v_mfma_f32_32x32x16_fp8_fp8 v[88:103], v[36:37], v[32:33], v[88:103]
	s_waitcnt vmcnt(8)
	v_mfma_f32_32x32x16_fp8_fp8 v[72:87], v[36:37], v[28:29], v[72:87]
	s_waitcnt vmcnt(4)
	v_mfma_f32_32x32x16_fp8_fp8 v[56:71], v[36:37], v[24:25], v[56:71]
	s_waitcnt vmcnt(0)
	v_mfma_f32_32x32x16_fp8_fp8 v[40:55], v[36:37], v[20:21], v[40:55]
	v_mfma_f32_32x32x16_fp8_fp8 v[88:103], v[38:39], v[34:35], v[88:103]
	s_nop 7
	s_nop 2
	scratch_store_dwordx4 off, v[88:91], off offset:1408 ; 16-byte Folded Spill
	s_nop 0
	scratch_store_dwordx4 off, v[92:95], off offset:1424 ; 16-byte Folded Spill
	scratch_store_dwordx4 off, v[96:99], off offset:1440 ; 16-byte Folded Spill
	scratch_store_dwordx4 off, v[100:103], off offset:1456 ; 16-byte Folded Spill
	v_mfma_f32_32x32x16_fp8_fp8 v[72:87], v[38:39], v[30:31], v[72:87]
	s_nop 7
	s_nop 2
	scratch_store_dwordx4 off, v[72:75], off offset:1344 ; 16-byte Folded Spill
	s_nop 0
	scratch_store_dwordx4 off, v[76:79], off offset:1360 ; 16-byte Folded Spill
	scratch_store_dwordx4 off, v[80:83], off offset:1376 ; 16-byte Folded Spill
	scratch_store_dwordx4 off, v[84:87], off offset:1392 ; 16-byte Folded Spill
	;; [unrolled: 8-line block ×4, first 2 shown]
	scratch_load_dwordx4 v[36:39], off, off offset:1152 ; 16-byte Folded Reload
	s_nop 0
	scratch_load_dwordx4 v[40:43], off, off offset:1168 ; 16-byte Folded Reload
	scratch_load_dwordx4 v[44:47], off, off offset:1184 ; 16-byte Folded Reload
	scratch_load_dwordx4 v[48:51], off, off offset:1200 ; 16-byte Folded Reload
	s_waitcnt vmcnt(0)
	v_mfma_f32_32x32x16_fp8_fp8 v[36:51], v[16:17], v[32:33], v[36:51]
	v_mfma_f32_32x32x16_fp8_fp8 v[36:51], v[18:19], v[34:35], v[36:51]
	s_nop 7
	s_nop 2
	scratch_store_dwordx4 off, v[36:39], off offset:1152 ; 16-byte Folded Spill
	s_nop 0
	scratch_store_dwordx4 off, v[40:43], off offset:1168 ; 16-byte Folded Spill
	scratch_store_dwordx4 off, v[44:47], off offset:1184 ; 16-byte Folded Spill
	scratch_store_dwordx4 off, v[48:51], off offset:1200 ; 16-byte Folded Spill
	scratch_load_dwordx4 v[32:35], off, off offset:1088 ; 16-byte Folded Reload
	s_nop 0
	scratch_load_dwordx4 v[36:39], off, off offset:1104 ; 16-byte Folded Reload
	scratch_load_dwordx4 v[40:43], off, off offset:1120 ; 16-byte Folded Reload
	scratch_load_dwordx4 v[44:47], off, off offset:1136 ; 16-byte Folded Reload
	s_waitcnt vmcnt(0)
	v_mfma_f32_32x32x16_fp8_fp8 v[32:47], v[16:17], v[28:29], v[32:47]
	v_mfma_f32_32x32x16_fp8_fp8 v[32:47], v[18:19], v[30:31], v[32:47]
	s_nop 7
	s_nop 2
	scratch_store_dwordx4 off, v[32:35], off offset:1088 ; 16-byte Folded Spill
	s_nop 0
	scratch_store_dwordx4 off, v[36:39], off offset:1104 ; 16-byte Folded Spill
	scratch_store_dwordx4 off, v[40:43], off offset:1120 ; 16-byte Folded Spill
	scratch_store_dwordx4 off, v[44:47], off offset:1136 ; 16-byte Folded Spill
	;; [unrolled: 15-line block ×3, first 2 shown]
	scratch_load_dwordx4 v[24:27], off, off offset:1856 ; 16-byte Folded Reload
	s_nop 0
	scratch_load_dwordx4 v[28:31], off, off offset:1872 ; 16-byte Folded Reload
	scratch_load_dwordx4 v[32:35], off, off offset:1888 ; 16-byte Folded Reload
	;; [unrolled: 1-line block ×3, first 2 shown]
	s_waitcnt vmcnt(0)
	v_mfma_f32_32x32x16_fp8_fp8 v[24:39], v[16:17], v[20:21], v[24:39]
	v_mfma_f32_32x32x16_fp8_fp8 v[24:39], v[18:19], v[22:23], v[24:39]
	s_cbranch_scc1 .LBB62_13
.LBB62_11:                              ;   Parent Loop BB62_8 Depth=1
                                        ; =>  This Inner Loop Header: Depth=2
	s_nop 7
	s_nop 1
	scratch_store_dwordx4 off, v[24:27], off offset:1856 ; 16-byte Folded Spill
	s_nop 0
	scratch_store_dwordx4 off, v[28:31], off offset:1872 ; 16-byte Folded Spill
	scratch_store_dwordx4 off, v[32:35], off offset:1888 ; 16-byte Folded Spill
	;; [unrolled: 1-line block ×3, first 2 shown]
	v_add_u32_e32 v48, s22, v104
	v_mov_b64_e32 v[16:17], 0
	v_cmp_gt_u32_e32 vcc, s4, v48
	v_mov_b64_e32 v[18:19], v[16:17]
	v_mov_b64_e32 v[36:37], v[16:17]
	v_mov_b64_e32 v[38:39], v[16:17]
	v_mov_b64_e32 v[40:41], v[16:17]
	v_mov_b64_e32 v[42:43], v[16:17]
	v_mov_b64_e32 v[44:45], v[16:17]
	v_mov_b64_e32 v[46:47], v[16:17]
	v_mov_b64_e32 v[20:21], v[16:17]
	v_mov_b64_e32 v[22:23], v[16:17]
	v_mov_b64_e32 v[24:25], v[16:17]
	v_mov_b64_e32 v[26:27], v[16:17]
	v_mov_b64_e32 v[28:29], v[16:17]
	v_mov_b64_e32 v[30:31], v[16:17]
	v_mov_b64_e32 v[32:33], v[16:17]
	v_mov_b64_e32 v[34:35], v[16:17]
	s_and_saveexec_b64 s[20:21], vcc
	s_cbranch_execz .LBB62_10
; %bb.12:                               ;   in Loop: Header=BB62_11 Depth=2
	v_add_u32_e32 v106, s22, v110
	s_waitcnt lgkmcnt(0)
	v_lshl_add_u64 v[16:17], s[2:3], 0, v[106:107]
	v_lshl_add_u64 v[18:19], v[16:17], 0, s[8:9]
	;; [unrolled: 1-line block ×4, first 2 shown]
	global_load_dwordx4 v[32:35], v106, s[2:3] nt
	global_load_dwordx4 v[28:31], v[18:19], off nt
	global_load_dwordx4 v[24:27], v[20:21], off nt
	ds_read_b128 v[44:47], v48
	global_load_dwordx4 v[20:23], v[16:17], off nt
	v_add_u32_e32 v16, s22, v109
	v_add_u32_e32 v17, s22, v105
	ds_read_b128 v[40:43], v16
	ds_read_b128 v[36:39], v17
	v_add_u32_e32 v16, s22, v108
	ds_read_b128 v[16:19], v16
	s_branch .LBB62_10
.LBB62_13:                              ;   in Loop: Header=BB62_8 Depth=1
	scratch_store_dwordx4 off, v[12:15], off offset:48
	scratch_store_dwordx4 off, v[8:11], off offset:32
	;; [unrolled: 1-line block ×3, first 2 shown]
	scratch_store_dwordx4 off, v[0:3], off
	scratch_load_dwordx4 v[0:3], off, off offset:1728 ; 16-byte Folded Reload
	s_nop 0
	scratch_load_dwordx4 v[4:7], off, off offset:1744 ; 16-byte Folded Reload
	scratch_load_dwordx4 v[8:11], off, off offset:1760 ; 16-byte Folded Reload
	scratch_load_dwordx4 v[12:15], off, off offset:1776 ; 16-byte Folded Reload
	s_waitcnt vmcnt(0)
	scratch_store_dwordx4 off, v[12:15], off offset:112
	scratch_store_dwordx4 off, v[8:11], off offset:96
	scratch_store_dwordx4 off, v[4:7], off offset:80
	scratch_store_dwordx4 off, v[0:3], off offset:64
	scratch_load_dwordx4 v[0:3], off, off offset:1600 ; 16-byte Folded Reload
	s_nop 0
	scratch_load_dwordx4 v[4:7], off, off offset:1616 ; 16-byte Folded Reload
	scratch_load_dwordx4 v[8:11], off, off offset:1632 ; 16-byte Folded Reload
	scratch_load_dwordx4 v[12:15], off, off offset:1648 ; 16-byte Folded Reload
	s_waitcnt vmcnt(0)
	scratch_store_dwordx4 off, v[12:15], off offset:176
	scratch_store_dwordx4 off, v[8:11], off offset:160
	scratch_store_dwordx4 off, v[4:7], off offset:144
	scratch_store_dwordx4 off, v[0:3], off offset:128
	;; [unrolled: 10-line block ×3, first 2 shown]
	scratch_store_dwordx4 off, v[124:127], off offset:304
	scratch_store_dwordx4 off, v[120:123], off offset:288
	;; [unrolled: 1-line block ×4, first 2 shown]
	scratch_load_dwordx4 v[0:3], off, off offset:1792 ; 16-byte Folded Reload
	scratch_load_dwordx4 v[4:7], off, off offset:1808 ; 16-byte Folded Reload
	;; [unrolled: 1-line block ×4, first 2 shown]
	s_waitcnt vmcnt(0)
	scratch_store_dwordx4 off, v[12:15], off offset:368
	scratch_store_dwordx4 off, v[8:11], off offset:352
	scratch_store_dwordx4 off, v[4:7], off offset:336
	scratch_store_dwordx4 off, v[0:3], off offset:320
	scratch_load_dwordx4 v[0:3], off, off offset:1664 ; 16-byte Folded Reload
	s_nop 0
	scratch_load_dwordx4 v[4:7], off, off offset:1680 ; 16-byte Folded Reload
	scratch_load_dwordx4 v[8:11], off, off offset:1696 ; 16-byte Folded Reload
	scratch_load_dwordx4 v[12:15], off, off offset:1712 ; 16-byte Folded Reload
	s_waitcnt vmcnt(0)
	scratch_store_dwordx4 off, v[12:15], off offset:432
	scratch_store_dwordx4 off, v[8:11], off offset:416
	scratch_store_dwordx4 off, v[4:7], off offset:400
	scratch_store_dwordx4 off, v[0:3], off offset:384
	scratch_load_dwordx4 v[0:3], off, off offset:1536 ; 16-byte Folded Reload
	s_nop 0
	scratch_load_dwordx4 v[4:7], off, off offset:1552 ; 16-byte Folded Reload
	scratch_load_dwordx4 v[8:11], off, off offset:1568 ; 16-byte Folded Reload
	scratch_load_dwordx4 v[12:15], off, off offset:1584 ; 16-byte Folded Reload
	;; [unrolled: 10-line block ×9, first 2 shown]
	s_waitcnt vmcnt(0)
	scratch_store_dwordx4 off, v[12:15], off offset:944
	scratch_store_dwordx4 off, v[8:11], off offset:928
	;; [unrolled: 1-line block ×8, first 2 shown]
	scratch_load_dword v120, off, off offset:1944 ; 4-byte Folded Reload
.LBB62_14:                              ;   in Loop: Header=BB62_8 Depth=1
	v_mov_b32_e32 v121, v107
	v_mov_b32_e32 v119, v110
	;; [unrolled: 1-line block ×6, first 2 shown]
	s_mov_b32 s20, 0
.LBB62_15:                              ;   Parent Loop BB62_8 Depth=1
                                        ; =>  This Inner Loop Header: Depth=2
	s_add_i32 s21, s20, 0
	scratch_load_dwordx4 v[0:3], off, s21 offset:48
	scratch_load_dwordx4 v[4:7], off, s21 offset:32
	scratch_load_dwordx4 v[8:11], off, s21
	scratch_load_dwordx4 v[12:15], off, s21 offset:16
	s_add_i32 s20, s20, 64
	s_cmpk_lg_i32 s20, 0x100
	s_waitcnt vmcnt(2)
	;;#ASMSTART
	v_add_f32 v4, v5, v4 row_shl:1 bound_ctrl:0 
	;;#ASMEND
	s_nop 0
	;;#ASMSTART
	v_add_f32 v4, v6, v4 row_shl:2 bound_ctrl:0 
	;;#ASMEND
	s_waitcnt vmcnt(1)
	;;#ASMSTART
	v_add_f32 v8, v9, v8 row_shl:1 bound_ctrl:0 
	;;#ASMEND
	;;#ASMSTART
	v_add_f32 v4, v7, v4 row_shl:3 bound_ctrl:0 
	;;#ASMEND
	s_nop 0
	;;#ASMSTART
	v_add_f32 v8, v10, v8 row_shl:2 bound_ctrl:0 
	;;#ASMEND
	;;#ASMSTART
	v_add_f32 v4, v0, v4 row_shl:8 bound_ctrl:0 
	;;#ASMEND
	s_nop 0
	;;#ASMSTART
	v_add_f32 v8, v11, v8 row_shl:3 bound_ctrl:0 
	;;#ASMEND
	;;#ASMSTART
	v_add_f32 v4, v1, v4 row_shl:9 bound_ctrl:0 
	;;#ASMEND
	s_waitcnt vmcnt(0)
	;;#ASMSTART
	v_add_f32 v8, v12, v8 row_shl:8 bound_ctrl:0 
	;;#ASMEND
	;;#ASMSTART
	v_add_f32 v4, v2, v4 row_shl:10 bound_ctrl:0 
	;;#ASMEND
	s_nop 0
	;;#ASMSTART
	v_add_f32 v8, v13, v8 row_shl:9 bound_ctrl:0 
	;;#ASMEND
	;;#ASMSTART
	v_add_f32 v4, v3, v4 row_shl:11 bound_ctrl:0 
	;;#ASMEND
	ds_bpermute_b32 v0, v120, v4 offset:208
	;;#ASMSTART
	v_add_f32 v8, v14, v8 row_shl:10 bound_ctrl:0 
	;;#ASMEND
	s_waitcnt lgkmcnt(0)
	v_add_f32_e32 v0, v4, v0
	;;#ASMSTART
	v_add_f32 v8, v15, v8 row_shl:11 bound_ctrl:0 
	;;#ASMEND
	ds_bpermute_b32 v1, v120, v8 offset:144
	ds_bpermute_b32 v0, v120, v0 offset:64
	s_waitcnt lgkmcnt(1)
	v_add_f32_e32 v1, v8, v1
	s_waitcnt lgkmcnt(0)
	v_add_f32_e32 v0, v1, v0
	scratch_store_dword off, v0, s21
	s_cbranch_scc1 .LBB62_15
; %bb.16:                               ;   in Loop: Header=BB62_8 Depth=1
	scratch_load_dwordx4 v[8:11], off, off offset:256
	scratch_load_dwordx4 v[4:7], off, off offset:288
	;; [unrolled: 1-line block ×16, first 2 shown]
	v_or_b32_e32 v114, 0xd0, v120
	v_or_b32_e32 v112, 0x90, v120
	scratch_load_dwordx4 v[64:67], off, off offset:560
	scratch_load_dwordx4 v[68:71], off, off offset:544
	;; [unrolled: 1-line block ×12, first 2 shown]
	v_or_b32_e32 v113, 64, v120
	s_waitcnt vmcnt(27)
	;;#ASMSTART
	v_add_f32 v8, v9, v8 row_shl:1 bound_ctrl:0 
	;;#ASMEND
	s_waitcnt vmcnt(26)
	;;#ASMSTART
	v_add_f32 v4, v5, v4 row_shl:1 bound_ctrl:0 
	;;#ASMEND
	;; [unrolled: 4-line block ×4, first 2 shown]
	;;#ASMSTART
	v_add_f32 v8, v10, v8 row_shl:2 bound_ctrl:0 
	;;#ASMEND
	s_waitcnt vmcnt(22)
	;;#ASMSTART
	v_add_f32 v56, v57, v56 row_shl:1 bound_ctrl:0 
	;;#ASMEND
	;;#ASMSTART
	v_add_f32 v16, v17, v16 row_shl:1 bound_ctrl:0 
	;;#ASMEND
	;; [unrolled: 3-line block ×6, first 2 shown]
	s_waitcnt vmcnt(20)
	;;#ASMSTART
	v_add_f32 v76, v77, v76 row_shl:1 bound_ctrl:0 
	;;#ASMEND
	;;#ASMSTART
	v_add_f32 v56, v58, v56 row_shl:2 bound_ctrl:0 
	;;#ASMEND
	;; [unrolled: 3-line block ×5, first 2 shown]
	s_waitcnt vmcnt(19)
	;;#ASMSTART
	v_add_f32 v8, v92, v8 row_shl:8 bound_ctrl:0 
	;;#ASMEND
	;;#ASMSTART
	v_add_f32 v76, v78, v76 row_shl:2 bound_ctrl:0 
	;;#ASMEND
	;; [unrolled: 3-line block ×3, first 2 shown]
	s_waitcnt vmcnt(18)
	;;#ASMSTART
	v_add_f32 v4, v88, v4 row_shl:8 bound_ctrl:0 
	;;#ASMEND
	s_waitcnt vmcnt(17)
	;;#ASMSTART
	v_add_f32 v32, v100, v32 row_shl:8 bound_ctrl:0 
	;;#ASMEND
	;; [unrolled: 4-line block ×3, first 2 shown]
	;;#ASMSTART
	v_add_f32 v8, v93, v8 row_shl:9 bound_ctrl:0 
	;;#ASMEND
	;;#ASMSTART
	v_add_f32 v76, v79, v76 row_shl:3 bound_ctrl:0 
	;;#ASMEND
	s_waitcnt vmcnt(14)
	;;#ASMSTART
	v_add_f32 v56, v104, v56 row_shl:8 bound_ctrl:0 
	;;#ASMEND
	;;#ASMSTART
	v_add_f32 v4, v89, v4 row_shl:9 bound_ctrl:0 
	;;#ASMEND
	;;#ASMSTART
	v_add_f32 v32, v101, v32 row_shl:9 bound_ctrl:0 
	;;#ASMEND
	;;#ASMSTART
	v_add_f32 v36, v97, v36 row_shl:9 bound_ctrl:0 
	;;#ASMEND
	;;#ASMSTART
	v_add_f32 v8, v94, v8 row_shl:10 bound_ctrl:0 
	;;#ASMEND
	s_waitcnt vmcnt(12)
	;;#ASMSTART
	v_add_f32 v76, v84, v76 row_shl:8 bound_ctrl:0 
	;;#ASMEND
	;;#ASMSTART
	v_add_f32 v56, v105, v56 row_shl:9 bound_ctrl:0 
	;;#ASMEND
	;; [unrolled: 3-line block ×6, first 2 shown]
	ds_bpermute_b32 v5, v112, v8
	;;#ASMSTART
	v_add_f32 v4, v91, v4 row_shl:11 bound_ctrl:0 
	;;#ASMEND
	ds_bpermute_b32 v6, v114, v4
	;;#ASMSTART
	v_add_f32 v36, v99, v36 row_shl:11 bound_ctrl:0 
	;;#ASMEND
	;; [unrolled: 4-line block ×3, first 2 shown]
	ds_bpermute_b32 v7, v112, v32
	s_waitcnt lgkmcnt(2)
	v_add_f32_e32 v4, v4, v6
	ds_bpermute_b32 v4, v113, v4
	s_waitcnt lgkmcnt(2)
	v_add_f32_e32 v6, v36, v9
	ds_bpermute_b32 v6, v113, v6
	;;#ASMSTART
	v_add_f32 v76, v85, v76 row_shl:9 bound_ctrl:0 
	;;#ASMEND
	v_add_f32_e32 v5, v8, v5
	;;#ASMSTART
	v_add_f32 v56, v106, v56 row_shl:10 bound_ctrl:0 
	;;#ASMEND
	s_waitcnt lgkmcnt(2)
	v_add_f32_e32 v7, v32, v7
	s_waitcnt lgkmcnt(1)
	v_add_f32_e32 v4, v5, v4
	;;#ASMSTART
	v_add_f32 v76, v86, v76 row_shl:10 bound_ctrl:0 
	;;#ASMEND
	;;#ASMSTART
	v_add_f32 v56, v107, v56 row_shl:11 bound_ctrl:0 
	;;#ASMEND
	ds_bpermute_b32 v10, v114, v56
	s_waitcnt lgkmcnt(1)
	v_add_f32_e32 v5, v7, v6
	scratch_store_dword off, v4, off offset:256
	scratch_store_dword off, v5, off offset:320
	;;#ASMSTART
	v_add_f32 v76, v87, v76 row_shl:11 bound_ctrl:0 
	;;#ASMEND
	ds_bpermute_b32 v4, v114, v76
	s_waitcnt lgkmcnt(1)
	v_add_f32_e32 v8, v56, v10
	;;#ASMSTART
	v_add_f32 v52, v53, v52 row_shl:1 bound_ctrl:0 
	;;#ASMEND
	;;#ASMSTART
	v_add_f32 v16, v18, v16 row_shl:2 bound_ctrl:0 
	;;#ASMEND
	ds_bpermute_b32 v18, v113, v8
	s_waitcnt lgkmcnt(1)
	v_add_f32_e32 v4, v76, v4
	ds_bpermute_b32 v53, v113, v4
	scratch_load_dwordx4 v[4:7], off, off offset:720
	scratch_load_dwordx4 v[8:11], off, off offset:704
	;; [unrolled: 1-line block ×4, first 2 shown]
	;;#ASMSTART
	v_add_f32 v16, v19, v16 row_shl:3 bound_ctrl:0 
	;;#ASMEND
	;;#ASMSTART
	v_add_f32 v52, v54, v52 row_shl:2 bound_ctrl:0 
	;;#ASMEND
	s_waitcnt vmcnt(16)
	;;#ASMSTART
	v_add_f32 v68, v69, v68 row_shl:1 bound_ctrl:0 
	;;#ASMEND
	s_waitcnt vmcnt(12)
	;;#ASMSTART
	v_add_f32 v44, v45, v44 row_shl:1 bound_ctrl:0 
	;;#ASMEND
	;;#ASMSTART
	v_add_f32 v12, v13, v12 row_shl:1 bound_ctrl:0 
	;;#ASMEND
	s_waitcnt vmcnt(10)
	;;#ASMSTART
	v_add_f32 v40, v41, v40 row_shl:1 bound_ctrl:0 
	;;#ASMEND
	;;#ASMSTART
	v_add_f32 v16, v108, v16 row_shl:8 bound_ctrl:0 
	;;#ASMEND
	;;#ASMSTART
	v_add_f32 v52, v55, v52 row_shl:3 bound_ctrl:0 
	;;#ASMEND
	;;#ASMSTART
	v_add_f32 v68, v70, v68 row_shl:2 bound_ctrl:0 
	;;#ASMEND
	;;#ASMSTART
	v_add_f32 v44, v46, v44 row_shl:2 bound_ctrl:0 
	;;#ASMEND
	;;#ASMSTART
	v_add_f32 v12, v14, v12 row_shl:2 bound_ctrl:0 
	;;#ASMEND
	s_nop 0
	;;#ASMSTART
	v_add_f32 v40, v42, v40 row_shl:2 bound_ctrl:0 
	;;#ASMEND
	;;#ASMSTART
	v_add_f32 v16, v109, v16 row_shl:9 bound_ctrl:0 
	;;#ASMEND
	;;#ASMSTART
	v_add_f32 v52, v80, v52 row_shl:8 bound_ctrl:0 
	;;#ASMEND
	;;#ASMSTART
	v_add_f32 v68, v71, v68 row_shl:3 bound_ctrl:0 
	;;#ASMEND
	;;#ASMSTART
	v_add_f32 v44, v47, v44 row_shl:3 bound_ctrl:0 
	;;#ASMEND
	;;#ASMSTART
	v_add_f32 v12, v15, v12 row_shl:3 bound_ctrl:0 
	;;#ASMEND
	s_nop 0
	;; [unrolled: 19-line block ×3, first 2 shown]
	;;#ASMSTART
	v_add_f32 v40, v48, v40 row_shl:8 bound_ctrl:0 
	;;#ASMEND
	;;#ASMSTART
	v_add_f32 v16, v111, v16 row_shl:11 bound_ctrl:0 
	;;#ASMEND
	ds_bpermute_b32 v17, v112, v16
	;;#ASMSTART
	v_add_f32 v52, v82, v52 row_shl:10 bound_ctrl:0 
	;;#ASMEND
	;;#ASMSTART
	v_add_f32 v68, v65, v68 row_shl:9 bound_ctrl:0 
	;;#ASMEND
	;; [unrolled: 3-line block ×4, first 2 shown]
	s_waitcnt lgkmcnt(0)
	v_add_f32_e32 v16, v16, v17
	;;#ASMSTART
	v_add_f32 v52, v83, v52 row_shl:11 bound_ctrl:0 
	;;#ASMEND
	ds_bpermute_b32 v19, v112, v52
	v_add_f32_e32 v16, v16, v18
	;;#ASMSTART
	v_add_f32 v68, v66, v68 row_shl:10 bound_ctrl:0 
	;;#ASMEND
	scratch_store_dword off, v16, off offset:384
	;;#ASMSTART
	v_add_f32 v68, v67, v68 row_shl:11 bound_ctrl:0 
	;;#ASMEND
	s_waitcnt lgkmcnt(0)
	v_add_f32_e32 v16, v52, v19
	ds_bpermute_b32 v13, v114, v68
	v_add_f32_e32 v16, v16, v53
	scratch_store_dword off, v16, off offset:448
	;;#ASMSTART
	v_add_f32 v44, v62, v44 row_shl:10 bound_ctrl:0 
	;;#ASMEND
	scratch_load_dwordx4 v[52:55], off, off offset:784
	scratch_load_dwordx4 v[14:17], off, off offset:768
	scratch_load_dwordx4 v[64:67], off, off offset:816
	scratch_load_dwordx4 v[56:59], off, off offset:800
	;;#ASMSTART
	v_add_f32 v44, v63, v44 row_shl:11 bound_ctrl:0 
	;;#ASMEND
	ds_bpermute_b32 v19, v114, v44
	;;#ASMSTART
	v_add_f32 v12, v74, v12 row_shl:10 bound_ctrl:0 
	;;#ASMEND
	s_waitcnt lgkmcnt(1)
	v_add_f32_e32 v13, v68, v13
	;;#ASMSTART
	v_add_f32 v12, v75, v12 row_shl:11 bound_ctrl:0 
	;;#ASMEND
	;;#ASMSTART
	v_add_f32 v40, v49, v40 row_shl:9 bound_ctrl:0 
	;;#ASMEND
	scratch_load_dwordx4 v[46:49], off, off offset:848
	scratch_load_dwordx4 v[60:63], off, off offset:832
	;; [unrolled: 1-line block ×4, first 2 shown]
	ds_bpermute_b32 v18, v112, v12
	s_waitcnt vmcnt(18)
	;;#ASMSTART
	v_add_f32 v24, v25, v24 row_shl:1 bound_ctrl:0 
	;;#ASMEND
	ds_bpermute_b32 v13, v113, v13
	;;#ASMSTART
	v_add_f32 v40, v50, v40 row_shl:10 bound_ctrl:0 
	;;#ASMEND
	;;#ASMSTART
	v_add_f32 v24, v26, v24 row_shl:2 bound_ctrl:0 
	;;#ASMEND
	s_waitcnt lgkmcnt(2)
	v_add_f32_e32 v19, v44, v19
	;;#ASMSTART
	v_add_f32 v40, v51, v40 row_shl:11 bound_ctrl:0 
	;;#ASMEND
	ds_bpermute_b32 v41, v112, v40
	;;#ASMSTART
	v_add_f32 v24, v27, v24 row_shl:3 bound_ctrl:0 
	;;#ASMEND
	ds_bpermute_b32 v19, v113, v19
	;;#ASMSTART
	v_add_f32 v24, v20, v24 row_shl:8 bound_ctrl:0 
	;;#ASMEND
	s_waitcnt lgkmcnt(3)
	v_add_f32_e32 v12, v12, v18
	;;#ASMSTART
	v_add_f32 v24, v21, v24 row_shl:9 bound_ctrl:0 
	;;#ASMEND
	s_waitcnt lgkmcnt(2)
	v_add_f32_e32 v12, v12, v13
	;;#ASMSTART
	v_add_f32 v24, v22, v24 row_shl:10 bound_ctrl:0 
	;;#ASMEND
	s_waitcnt vmcnt(16)
	;;#ASMSTART
	v_add_f32 v0, v1, v0 row_shl:1 bound_ctrl:0 
	;;#ASMEND
	scratch_store_dword off, v12, off offset:512
	;;#ASMSTART
	v_add_f32 v24, v23, v24 row_shl:11 bound_ctrl:0 
	;;#ASMEND
	ds_bpermute_b32 v1, v114, v24
	s_waitcnt lgkmcnt(2)
	v_add_f32_e32 v12, v40, v41
	s_waitcnt lgkmcnt(1)
	v_add_f32_e32 v12, v12, v19
	;;#ASMSTART
	v_add_f32 v0, v2, v0 row_shl:2 bound_ctrl:0 
	;;#ASMEND
	scratch_store_dword off, v12, off offset:576
	;;#ASMSTART
	v_add_f32 v0, v3, v0 row_shl:3 bound_ctrl:0 
	;;#ASMEND
	s_waitcnt vmcnt(14)
	;;#ASMSTART
	v_add_f32 v8, v9, v8 row_shl:1 bound_ctrl:0 
	;;#ASMEND
	;;#ASMSTART
	v_add_f32 v0, v28, v0 row_shl:8 bound_ctrl:0 
	;;#ASMEND
	scratch_load_dwordx4 v[40:43], off, off offset:912
	scratch_load_dwordx4 v[18:21], off, off offset:896
	;; [unrolled: 1-line block ×4, first 2 shown]
	;;#ASMSTART
	v_add_f32 v8, v10, v8 row_shl:2 bound_ctrl:0 
	;;#ASMEND
	;;#ASMSTART
	v_add_f32 v0, v29, v0 row_shl:9 bound_ctrl:0 
	;;#ASMEND
	s_waitcnt lgkmcnt(0)
	v_add_f32_e32 v1, v24, v1
	;;#ASMSTART
	v_add_f32 v8, v11, v8 row_shl:3 bound_ctrl:0 
	;;#ASMEND
	scratch_load_dwordx4 v[10:13], off, off offset:976
	scratch_load_dwordx4 v[22:25], off, off offset:960
	;; [unrolled: 1-line block ×4, first 2 shown]
	s_waitcnt vmcnt(20)
	;;#ASMSTART
	v_add_f32 v32, v33, v32 row_shl:1 bound_ctrl:0 
	;;#ASMEND
	;;#ASMSTART
	v_add_f32 v0, v30, v0 row_shl:10 bound_ctrl:0 
	;;#ASMEND
	;; [unrolled: 3-line block ×3, first 2 shown]
	ds_bpermute_b32 v1, v113, v1
	;;#ASMSTART
	v_add_f32 v32, v34, v32 row_shl:2 bound_ctrl:0 
	;;#ASMEND
	;;#ASMSTART
	v_add_f32 v0, v31, v0 row_shl:11 bound_ctrl:0 
	;;#ASMEND
	ds_bpermute_b32 v2, v112, v0
	;;#ASMSTART
	v_add_f32 v32, v35, v32 row_shl:3 bound_ctrl:0 
	;;#ASMEND
	;;#ASMSTART
	v_add_f32 v8, v5, v8 row_shl:9 bound_ctrl:0 
	;;#ASMEND
	s_waitcnt vmcnt(14)
	;;#ASMSTART
	v_add_f32 v56, v57, v56 row_shl:1 bound_ctrl:0 
	;;#ASMEND
	;;#ASMSTART
	v_add_f32 v32, v36, v32 row_shl:8 bound_ctrl:0 
	;;#ASMEND
	;; [unrolled: 3-line block ×3, first 2 shown]
	s_nop 0
	;;#ASMSTART
	v_add_f32 v56, v58, v56 row_shl:2 bound_ctrl:0 
	;;#ASMEND
	s_waitcnt lgkmcnt(0)
	v_add_f32_e32 v0, v0, v2
	;;#ASMSTART
	v_add_f32 v32, v37, v32 row_shl:9 bound_ctrl:0 
	;;#ASMEND
	;;#ASMSTART
	v_add_f32 v8, v7, v8 row_shl:11 bound_ctrl:0 
	;;#ASMEND
	ds_bpermute_b32 v4, v112, v8
	;;#ASMSTART
	v_add_f32 v32, v38, v32 row_shl:10 bound_ctrl:0 
	;;#ASMEND
	;;#ASMSTART
	v_add_f32 v56, v59, v56 row_shl:3 bound_ctrl:0 
	;;#ASMEND
	s_waitcnt vmcnt(10)
	;;#ASMSTART
	v_add_f32 v68, v69, v68 row_shl:1 bound_ctrl:0 
	;;#ASMEND
	v_add_f32_e32 v0, v0, v1
	;;#ASMSTART
	v_add_f32 v32, v39, v32 row_shl:11 bound_ctrl:0 
	;;#ASMEND
	ds_bpermute_b32 v3, v114, v32
	;;#ASMSTART
	v_add_f32 v56, v64, v56 row_shl:8 bound_ctrl:0 
	;;#ASMEND
	;;#ASMSTART
	v_add_f32 v68, v70, v68 row_shl:2 bound_ctrl:0 
	;;#ASMEND
	scratch_store_dword off, v0, off offset:640
	s_waitcnt lgkmcnt(1)
	v_add_f32_e32 v0, v8, v4
	s_waitcnt lgkmcnt(0)
	v_add_f32_e32 v3, v32, v3
	ds_bpermute_b32 v3, v113, v3
	;;#ASMSTART
	v_add_f32 v56, v65, v56 row_shl:9 bound_ctrl:0 
	;;#ASMEND
	;;#ASMSTART
	v_add_f32 v68, v71, v68 row_shl:3 bound_ctrl:0 
	;;#ASMEND
	;; [unrolled: 3-line block ×4, first 2 shown]
	s_waitcnt lgkmcnt(0)
	v_add_f32_e32 v0, v0, v3
	;;#ASMSTART
	v_add_f32 v56, v66, v56 row_shl:10 bound_ctrl:0 
	;;#ASMEND
	;;#ASMSTART
	v_add_f32 v68, v72, v68 row_shl:8 bound_ctrl:0 
	;;#ASMEND
	scratch_store_dword off, v0, off offset:704
	;;#ASMSTART
	v_add_f32 v14, v16, v14 row_shl:2 bound_ctrl:0 
	;;#ASMEND
	;;#ASMSTART
	v_add_f32 v56, v67, v56 row_shl:11 bound_ctrl:0 
	;;#ASMEND
	ds_bpermute_b32 v0, v114, v56
	;;#ASMSTART
	v_add_f32 v68, v73, v68 row_shl:9 bound_ctrl:0 
	;;#ASMEND
	;;#ASMSTART
	v_add_f32 v14, v17, v14 row_shl:3 bound_ctrl:0 
	;;#ASMEND
	;; [unrolled: 3-line block ×3, first 2 shown]
	s_waitcnt vmcnt(6)
	;;#ASMSTART
	v_add_f32 v76, v77, v76 row_shl:1 bound_ctrl:0 
	;;#ASMEND
	;;#ASMSTART
	v_add_f32 v68, v74, v68 row_shl:10 bound_ctrl:0 
	;;#ASMEND
	;; [unrolled: 3-line block ×4, first 2 shown]
	s_waitcnt lgkmcnt(0)
	v_add_f32_e32 v0, v56, v0
	;;#ASMSTART
	v_add_f32 v68, v75, v68 row_shl:11 bound_ctrl:0 
	;;#ASMEND
	ds_bpermute_b32 v2, v114, v68
	;;#ASMSTART
	v_add_f32 v14, v53, v14 row_shl:9 bound_ctrl:0 
	;;#ASMEND
	;;#ASMSTART
	v_add_f32 v60, v46, v60 row_shl:8 bound_ctrl:0 
	;;#ASMEND
	ds_bpermute_b32 v0, v113, v0
	;;#ASMSTART
	v_add_f32 v14, v54, v14 row_shl:10 bound_ctrl:0 
	;;#ASMEND
	;;#ASMSTART
	v_add_f32 v60, v47, v60 row_shl:9 bound_ctrl:0 
	;;#ASMEND
	s_waitcnt lgkmcnt(1)
	v_add_f32_e32 v2, v68, v2
	;;#ASMSTART
	v_add_f32 v14, v55, v14 row_shl:11 bound_ctrl:0 
	;;#ASMEND
	ds_bpermute_b32 v1, v112, v14
	;;#ASMSTART
	v_add_f32 v60, v48, v60 row_shl:10 bound_ctrl:0 
	;;#ASMEND
	ds_bpermute_b32 v2, v113, v2
	;; [unrolled: 4-line block ×3, first 2 shown]
	;;#ASMSTART
	v_add_f32 v76, v78, v76 row_shl:2 bound_ctrl:0 
	;;#ASMEND
	s_waitcnt vmcnt(2)
	;;#ASMSTART
	v_add_f32 v26, v27, v26 row_shl:1 bound_ctrl:0 
	;;#ASMEND
	s_waitcnt lgkmcnt(2)
	v_add_f32_e32 v1, v14, v1
	;;#ASMSTART
	v_add_f32 v76, v79, v76 row_shl:3 bound_ctrl:0 
	;;#ASMEND
	;;#ASMSTART
	v_add_f32 v26, v28, v26 row_shl:2 bound_ctrl:0 
	;;#ASMEND
	v_add_f32_e32 v0, v1, v0
	;;#ASMSTART
	v_add_f32 v76, v80, v76 row_shl:8 bound_ctrl:0 
	;;#ASMEND
	;;#ASMSTART
	v_add_f32 v26, v29, v26 row_shl:3 bound_ctrl:0 
	;;#ASMEND
	scratch_store_dword off, v0, off offset:768
	;;#ASMSTART
	v_add_f32 v76, v81, v76 row_shl:9 bound_ctrl:0 
	;;#ASMEND
	;;#ASMSTART
	v_add_f32 v26, v84, v26 row_shl:8 bound_ctrl:0 
	;;#ASMEND
	s_waitcnt lgkmcnt(0)
	v_add_f32_e32 v0, v60, v3
	;;#ASMSTART
	v_add_f32 v18, v19, v18 row_shl:1 bound_ctrl:0 
	;;#ASMEND
	;;#ASMSTART
	v_add_f32 v76, v82, v76 row_shl:10 bound_ctrl:0 
	;;#ASMEND
	;; [unrolled: 3-line block ×3, first 2 shown]
	v_add_f32_e32 v2, v0, v2
	;;#ASMSTART
	v_add_f32 v18, v20, v18 row_shl:2 bound_ctrl:0 
	;;#ASMEND
	;;#ASMSTART
	v_add_f32 v76, v83, v76 row_shl:11 bound_ctrl:0 
	;;#ASMEND
	ds_bpermute_b32 v0, v114, v76
	;;#ASMSTART
	v_add_f32 v22, v23, v22 row_shl:1 bound_ctrl:0 
	;;#ASMEND
	;;#ASMSTART
	v_add_f32 v26, v86, v26 row_shl:10 bound_ctrl:0 
	;;#ASMEND
	;; [unrolled: 3-line block ×3, first 2 shown]
	scratch_store_dword off, v2, off offset:832
	;;#ASMSTART
	v_add_f32 v22, v24, v22 row_shl:2 bound_ctrl:0 
	;;#ASMEND
	;;#ASMSTART
	v_add_f32 v26, v87, v26 row_shl:11 bound_ctrl:0 
	;;#ASMEND
	ds_bpermute_b32 v3, v114, v26
	;;#ASMSTART
	v_add_f32 v18, v40, v18 row_shl:8 bound_ctrl:0 
	;;#ASMEND
	;;#ASMSTART
	v_add_f32 v22, v25, v22 row_shl:3 bound_ctrl:0 
	;;#ASMEND
	s_waitcnt lgkmcnt(1)
	v_add_f32_e32 v0, v76, v0
	;;#ASMSTART
	v_add_f32 v18, v41, v18 row_shl:9 bound_ctrl:0 
	;;#ASMEND
	;;#ASMSTART
	v_add_f32 v22, v10, v22 row_shl:8 bound_ctrl:0 
	;;#ASMEND
	ds_bpermute_b32 v0, v113, v0
	;;#ASMSTART
	v_add_f32 v18, v42, v18 row_shl:10 bound_ctrl:0 
	;;#ASMEND
	;;#ASMSTART
	v_add_f32 v22, v11, v22 row_shl:9 bound_ctrl:0 
	;;#ASMEND
	s_waitcnt lgkmcnt(1)
	v_add_f32_e32 v3, v26, v3
	;;#ASMSTART
	v_add_f32 v18, v43, v18 row_shl:11 bound_ctrl:0 
	;;#ASMEND
	ds_bpermute_b32 v1, v112, v18
	;;#ASMSTART
	v_add_f32 v22, v12, v22 row_shl:10 bound_ctrl:0 
	;;#ASMEND
	ds_bpermute_b32 v3, v113, v3
	;; [unrolled: 4-line block ×3, first 2 shown]
	s_waitcnt lgkmcnt(2)
	v_add_f32_e32 v1, v18, v1
	v_add_f32_e32 v4, v1, v0
	scratch_store_dword off, v4, off offset:896
	s_waitcnt lgkmcnt(0)
	v_add_f32_e32 v0, v22, v5
	v_add_f32_e32 v3, v0, v3
	scratch_store_dword off, v3, off offset:960
	s_mov_b64 s[20:21], exec
	scratch_load_dwordx2 v[12:13], off, off offset:1920 ; 8-byte Folded Reload
	s_and_b64 s[22:23], s[20:21], s[0:1]
	v_mov_b32_e32 v104, v116
	v_mov_b32_e32 v108, v118
	v_mov_b32_e32 v105, v115
	v_mov_b32_e32 v109, v117
	v_mov_b32_e32 v110, v119
	v_mov_b32_e32 v107, v121
	s_mov_b64 exec, s[22:23]
	s_cbranch_execz .LBB62_7
; %bb.17:                               ;   in Loop: Header=BB62_8 Depth=1
	scratch_load_dwordx4 v[6:9], off, off
                                        ; implicit-def: $vgpr5
	s_waitcnt vmcnt(0)
	v_mul_f32_e32 v0, s7, v6
	v_mul_f32_e32 v0, s24, v0
	v_and_b32_e32 v1, 0x7f800000, v0
	v_cmp_ne_u32_e32 vcc, s26, v1
	s_and_saveexec_b64 s[22:23], vcc
	s_xor_b64 s[22:23], exec, s[22:23]
; %bb.18:                               ;   in Loop: Header=BB62_8 Depth=1
	v_bfe_u32 v1, v0, 16, 1
	v_add3_u32 v5, v0, v1, s27
                                        ; implicit-def: $vgpr0
; %bb.19:                               ;   in Loop: Header=BB62_8 Depth=1
	s_andn2_saveexec_b64 s[22:23], s[22:23]
; %bb.20:                               ;   in Loop: Header=BB62_8 Depth=1
	v_or_b32_e32 v1, 0x10000, v0
	v_cmp_eq_u32_sdwa vcc, v0, v107 src0_sel:WORD_0 src1_sel:DWORD
	s_nop 1
	v_cndmask_b32_e32 v5, v1, v0, vcc
; %bb.21:                               ;   in Loop: Header=BB62_8 Depth=1
	s_or_b64 exec, exec, s[22:23]
	scratch_load_dwordx4 v[6:9], off, off offset:64
	v_mov_b32_e32 v13, v107
	v_lshl_add_u64 v[0:1], v[12:13], 1, s[12:13]
	global_store_short_d16_hi v[0:1], v5, off
	s_waitcnt vmcnt(1)
	v_mul_f32_e32 v5, s7, v6
	v_mul_f32_e32 v5, s24, v5
	v_and_b32_e32 v6, 0x7f800000, v5
	v_cmp_ne_u32_e32 vcc, s26, v6
                                        ; implicit-def: $vgpr6
	s_and_saveexec_b64 s[22:23], vcc
	s_xor_b64 s[22:23], exec, s[22:23]
; %bb.22:                               ;   in Loop: Header=BB62_8 Depth=1
	v_bfe_u32 v6, v5, 16, 1
	v_add3_u32 v6, v5, v6, s27
                                        ; implicit-def: $vgpr5
; %bb.23:                               ;   in Loop: Header=BB62_8 Depth=1
	s_andn2_saveexec_b64 s[22:23], s[22:23]
; %bb.24:                               ;   in Loop: Header=BB62_8 Depth=1
	v_or_b32_e32 v6, 0x10000, v5
	v_cmp_eq_u32_sdwa vcc, v5, v107 src0_sel:WORD_0 src1_sel:DWORD
	s_nop 1
	v_cndmask_b32_e32 v6, v6, v5, vcc
; %bb.25:                               ;   in Loop: Header=BB62_8 Depth=1
	s_or_b64 exec, exec, s[22:23]
	scratch_load_dwordx4 v[8:11], off, off offset:128
	s_waitcnt vmcnt(0)
	v_mul_f32_e32 v5, s7, v8
	v_mul_f32_e32 v5, s24, v5
	global_store_short_d16_hi v[0:1], v6, off offset:2
	v_and_b32_e32 v6, 0x7f800000, v5
	v_cmp_ne_u32_e32 vcc, s26, v6
                                        ; implicit-def: $vgpr6
	s_and_saveexec_b64 s[22:23], vcc
	s_xor_b64 s[22:23], exec, s[22:23]
; %bb.26:                               ;   in Loop: Header=BB62_8 Depth=1
	v_bfe_u32 v6, v5, 16, 1
	v_add3_u32 v6, v5, v6, s27
                                        ; implicit-def: $vgpr5
; %bb.27:                               ;   in Loop: Header=BB62_8 Depth=1
	s_andn2_saveexec_b64 s[22:23], s[22:23]
; %bb.28:                               ;   in Loop: Header=BB62_8 Depth=1
	v_or_b32_e32 v6, 0x10000, v5
	v_cmp_eq_u32_sdwa vcc, v5, v107 src0_sel:WORD_0 src1_sel:DWORD
	s_nop 1
	v_cndmask_b32_e32 v6, v6, v5, vcc
; %bb.29:                               ;   in Loop: Header=BB62_8 Depth=1
	s_or_b64 exec, exec, s[22:23]
	scratch_load_dwordx4 v[8:11], off, off offset:192
	s_waitcnt vmcnt(0)
	v_mul_f32_e32 v5, s7, v8
	v_mul_f32_e32 v5, s24, v5
	global_store_short_d16_hi v[0:1], v6, off offset:4
	v_and_b32_e32 v6, 0x7f800000, v5
	v_cmp_ne_u32_e32 vcc, s26, v6
                                        ; implicit-def: $vgpr6
	s_and_saveexec_b64 s[22:23], vcc
	s_xor_b64 s[22:23], exec, s[22:23]
; %bb.30:                               ;   in Loop: Header=BB62_8 Depth=1
	v_bfe_u32 v6, v5, 16, 1
	v_add3_u32 v6, v5, v6, s27
                                        ; implicit-def: $vgpr5
; %bb.31:                               ;   in Loop: Header=BB62_8 Depth=1
	s_andn2_saveexec_b64 s[22:23], s[22:23]
; %bb.32:                               ;   in Loop: Header=BB62_8 Depth=1
	v_or_b32_e32 v6, 0x10000, v5
	v_cmp_eq_u32_sdwa vcc, v5, v107 src0_sel:WORD_0 src1_sel:DWORD
	s_nop 1
	v_cndmask_b32_e32 v6, v6, v5, vcc
; %bb.33:                               ;   in Loop: Header=BB62_8 Depth=1
	s_or_b64 exec, exec, s[22:23]
	scratch_load_dwordx4 v[8:11], off, off offset:256
	s_nop 0
	global_store_short_d16_hi v[0:1], v6, off offset:6
	s_waitcnt vmcnt(1)
	v_mul_f32_e32 v0, s7, v8
	v_mul_f32_e32 v1, s24, v0
	v_and_b32_e32 v0, 0x7f800000, v1
	v_cmp_ne_u32_e32 vcc, s26, v0
                                        ; implicit-def: $vgpr0
	s_and_saveexec_b64 s[22:23], vcc
	s_xor_b64 s[22:23], exec, s[22:23]
; %bb.34:                               ;   in Loop: Header=BB62_8 Depth=1
	v_bfe_u32 v0, v1, 16, 1
	v_add3_u32 v0, v1, v0, s27
                                        ; implicit-def: $vgpr1
; %bb.35:                               ;   in Loop: Header=BB62_8 Depth=1
	s_andn2_saveexec_b64 s[22:23], s[22:23]
; %bb.36:                               ;   in Loop: Header=BB62_8 Depth=1
	v_or_b32_e32 v0, 0x10000, v1
	v_cmp_eq_u32_sdwa vcc, v1, v107 src0_sel:WORD_0 src1_sel:DWORD
	s_nop 1
	v_cndmask_b32_e32 v0, v0, v1, vcc
; %bb.37:                               ;   in Loop: Header=BB62_8 Depth=1
	s_or_b64 exec, exec, s[22:23]
	scratch_load_dwordx4 v[6:9], off, off offset:320
	v_add_u32_e32 v106, s6, v12
	s_waitcnt vmcnt(0)
	v_lshl_add_u64 v[8:9], v[106:107], 1, s[12:13]
	global_store_short_d16_hi v[8:9], v0, off
	v_mul_f32_e32 v0, s7, v6
	v_mul_f32_e32 v1, s24, v0
	v_and_b32_e32 v0, 0x7f800000, v1
	v_cmp_ne_u32_e32 vcc, s26, v0
                                        ; implicit-def: $vgpr0
	s_and_saveexec_b64 s[22:23], vcc
	s_xor_b64 s[22:23], exec, s[22:23]
; %bb.38:                               ;   in Loop: Header=BB62_8 Depth=1
	v_bfe_u32 v0, v1, 16, 1
	v_add3_u32 v0, v1, v0, s27
                                        ; implicit-def: $vgpr1
; %bb.39:                               ;   in Loop: Header=BB62_8 Depth=1
	s_andn2_saveexec_b64 s[22:23], s[22:23]
; %bb.40:                               ;   in Loop: Header=BB62_8 Depth=1
	v_or_b32_e32 v0, 0x10000, v1
	v_cmp_eq_u32_sdwa vcc, v1, v107 src0_sel:WORD_0 src1_sel:DWORD
	s_nop 1
	v_cndmask_b32_e32 v0, v0, v1, vcc
; %bb.41:                               ;   in Loop: Header=BB62_8 Depth=1
	s_or_b64 exec, exec, s[22:23]
	scratch_load_dwordx4 v[6:9], off, off offset:384
	s_waitcnt vmcnt(0)
	v_add_u32_e32 v8, 1, v106
	v_mov_b32_e32 v9, v107
	v_lshl_add_u64 v[8:9], v[8:9], 1, s[12:13]
	global_store_short_d16_hi v[8:9], v0, off
	v_mul_f32_e32 v0, s7, v6
	v_mul_f32_e32 v1, s24, v0
	v_and_b32_e32 v0, 0x7f800000, v1
	v_cmp_ne_u32_e32 vcc, s26, v0
                                        ; implicit-def: $vgpr0
	s_and_saveexec_b64 s[22:23], vcc
	s_xor_b64 s[22:23], exec, s[22:23]
; %bb.42:                               ;   in Loop: Header=BB62_8 Depth=1
	v_bfe_u32 v0, v1, 16, 1
	v_add3_u32 v0, v1, v0, s27
                                        ; implicit-def: $vgpr1
; %bb.43:                               ;   in Loop: Header=BB62_8 Depth=1
	s_andn2_saveexec_b64 s[22:23], s[22:23]
; %bb.44:                               ;   in Loop: Header=BB62_8 Depth=1
	v_or_b32_e32 v0, 0x10000, v1
	v_cmp_eq_u32_sdwa vcc, v1, v107 src0_sel:WORD_0 src1_sel:DWORD
	s_nop 1
	v_cndmask_b32_e32 v0, v0, v1, vcc
; %bb.45:                               ;   in Loop: Header=BB62_8 Depth=1
	s_or_b64 exec, exec, s[22:23]
	scratch_load_dwordx4 v[6:9], off, off offset:448
	s_waitcnt vmcnt(0)
	v_add_u32_e32 v8, 2, v106
	v_mov_b32_e32 v9, v107
	;; [unrolled: 26-line block ×3, first 2 shown]
	v_lshl_add_u64 v[8:9], v[8:9], 1, s[12:13]
	global_store_short_d16_hi v[8:9], v0, off
                                        ; implicit-def: $vgpr5
	v_mul_f32_e32 v0, s7, v6
	v_mul_f32_e32 v0, s24, v0
	v_and_b32_e32 v1, 0x7f800000, v0
	v_cmp_ne_u32_e32 vcc, s26, v1
	s_and_saveexec_b64 s[22:23], vcc
	s_xor_b64 s[22:23], exec, s[22:23]
; %bb.50:                               ;   in Loop: Header=BB62_8 Depth=1
	v_bfe_u32 v1, v0, 16, 1
	v_add3_u32 v5, v0, v1, s27
                                        ; implicit-def: $vgpr0
; %bb.51:                               ;   in Loop: Header=BB62_8 Depth=1
	s_andn2_saveexec_b64 s[22:23], s[22:23]
; %bb.52:                               ;   in Loop: Header=BB62_8 Depth=1
	v_or_b32_e32 v1, 0x10000, v0
	v_cmp_eq_u32_sdwa vcc, v0, v107 src0_sel:WORD_0 src1_sel:DWORD
	s_nop 1
	v_cndmask_b32_e32 v5, v1, v0, vcc
; %bb.53:                               ;   in Loop: Header=BB62_8 Depth=1
	s_or_b64 exec, exec, s[22:23]
	scratch_load_dwordx4 v[6:9], off, off offset:576
	v_add_u32_e32 v106, s6, v106
	v_lshl_add_u64 v[0:1], v[106:107], 1, s[12:13]
	global_store_short_d16_hi v[0:1], v5, off
	s_waitcnt vmcnt(1)
	v_mul_f32_e32 v5, s7, v6
	v_mul_f32_e32 v5, s24, v5
	v_and_b32_e32 v6, 0x7f800000, v5
	v_cmp_ne_u32_e32 vcc, s26, v6
                                        ; implicit-def: $vgpr6
	s_and_saveexec_b64 s[22:23], vcc
	s_xor_b64 s[22:23], exec, s[22:23]
; %bb.54:                               ;   in Loop: Header=BB62_8 Depth=1
	v_bfe_u32 v6, v5, 16, 1
	v_add3_u32 v6, v5, v6, s27
                                        ; implicit-def: $vgpr5
; %bb.55:                               ;   in Loop: Header=BB62_8 Depth=1
	s_andn2_saveexec_b64 s[22:23], s[22:23]
; %bb.56:                               ;   in Loop: Header=BB62_8 Depth=1
	v_or_b32_e32 v6, 0x10000, v5
	v_cmp_eq_u32_sdwa vcc, v5, v107 src0_sel:WORD_0 src1_sel:DWORD
	s_nop 1
	v_cndmask_b32_e32 v6, v6, v5, vcc
; %bb.57:                               ;   in Loop: Header=BB62_8 Depth=1
	s_or_b64 exec, exec, s[22:23]
	scratch_load_dwordx4 v[8:11], off, off offset:640
	s_nop 0
	global_store_short_d16_hi v[0:1], v6, off offset:2
	s_waitcnt vmcnt(1)
	v_mul_f32_e32 v0, s7, v8
	v_mul_f32_e32 v1, s24, v0
	v_and_b32_e32 v0, 0x7f800000, v1
	v_cmp_ne_u32_e32 vcc, s26, v0
                                        ; implicit-def: $vgpr0
	s_and_saveexec_b64 s[22:23], vcc
	s_xor_b64 s[22:23], exec, s[22:23]
; %bb.58:                               ;   in Loop: Header=BB62_8 Depth=1
	v_bfe_u32 v0, v1, 16, 1
	v_add3_u32 v0, v1, v0, s27
                                        ; implicit-def: $vgpr1
; %bb.59:                               ;   in Loop: Header=BB62_8 Depth=1
	s_andn2_saveexec_b64 s[22:23], s[22:23]
; %bb.60:                               ;   in Loop: Header=BB62_8 Depth=1
	v_or_b32_e32 v0, 0x10000, v1
	v_cmp_eq_u32_sdwa vcc, v1, v107 src0_sel:WORD_0 src1_sel:DWORD
	s_nop 1
	v_cndmask_b32_e32 v0, v0, v1, vcc
; %bb.61:                               ;   in Loop: Header=BB62_8 Depth=1
	s_or_b64 exec, exec, s[22:23]
	scratch_load_dwordx4 v[6:9], off, off offset:704
	s_waitcnt vmcnt(0)
	v_add_u32_e32 v8, 2, v106
	v_mov_b32_e32 v9, v107
	v_lshl_add_u64 v[8:9], v[8:9], 1, s[12:13]
	global_store_short_d16_hi v[8:9], v0, off
	v_mul_f32_e32 v0, s7, v6
	v_mul_f32_e32 v1, s24, v0
	v_and_b32_e32 v0, 0x7f800000, v1
	v_cmp_ne_u32_e32 vcc, s26, v0
                                        ; implicit-def: $vgpr0
	s_and_saveexec_b64 s[22:23], vcc
	s_xor_b64 s[22:23], exec, s[22:23]
; %bb.62:                               ;   in Loop: Header=BB62_8 Depth=1
	v_bfe_u32 v0, v1, 16, 1
	v_add3_u32 v0, v1, v0, s27
                                        ; implicit-def: $vgpr1
; %bb.63:                               ;   in Loop: Header=BB62_8 Depth=1
	s_andn2_saveexec_b64 s[22:23], s[22:23]
; %bb.64:                               ;   in Loop: Header=BB62_8 Depth=1
	v_or_b32_e32 v0, 0x10000, v1
	v_cmp_eq_u32_sdwa vcc, v1, v107 src0_sel:WORD_0 src1_sel:DWORD
	s_nop 1
	v_cndmask_b32_e32 v0, v0, v1, vcc
; %bb.65:                               ;   in Loop: Header=BB62_8 Depth=1
	s_or_b64 exec, exec, s[22:23]
	scratch_load_dwordx4 v[6:9], off, off offset:768
	s_waitcnt vmcnt(0)
	v_add_u32_e32 v8, 3, v106
	v_mov_b32_e32 v9, v107
	v_lshl_add_u64 v[8:9], v[8:9], 1, s[12:13]
	global_store_short_d16_hi v[8:9], v0, off
	v_mul_f32_e32 v0, s7, v6
	v_mul_f32_e32 v1, s24, v0
	v_and_b32_e32 v0, 0x7f800000, v1
	v_cmp_ne_u32_e32 vcc, s26, v0
                                        ; implicit-def: $vgpr0
	s_and_saveexec_b64 s[22:23], vcc
	s_xor_b64 s[22:23], exec, s[22:23]
; %bb.66:                               ;   in Loop: Header=BB62_8 Depth=1
	v_bfe_u32 v0, v1, 16, 1
	v_add3_u32 v0, v1, v0, s27
                                        ; implicit-def: $vgpr1
; %bb.67:                               ;   in Loop: Header=BB62_8 Depth=1
	s_andn2_saveexec_b64 s[22:23], s[22:23]
; %bb.68:                               ;   in Loop: Header=BB62_8 Depth=1
	v_or_b32_e32 v0, 0x10000, v1
	v_cmp_eq_u32_sdwa vcc, v1, v107 src0_sel:WORD_0 src1_sel:DWORD
	s_nop 1
	v_cndmask_b32_e32 v0, v0, v1, vcc
; %bb.69:                               ;   in Loop: Header=BB62_8 Depth=1
	s_or_b64 exec, exec, s[22:23]
	v_add_u32_e32 v106, s6, v106
	v_lshl_add_u64 v[6:7], v[106:107], 1, s[12:13]
	global_store_short_d16_hi v[6:7], v0, off
	v_mul_f32_e32 v0, s7, v2
	v_mul_f32_e32 v1, s24, v0
	v_and_b32_e32 v0, 0x7f800000, v1
	v_cmp_ne_u32_e32 vcc, s26, v0
                                        ; implicit-def: $vgpr0
	s_and_saveexec_b64 s[22:23], vcc
	s_xor_b64 s[22:23], exec, s[22:23]
; %bb.70:                               ;   in Loop: Header=BB62_8 Depth=1
	v_bfe_u32 v0, v1, 16, 1
	v_add3_u32 v0, v1, v0, s27
                                        ; implicit-def: $vgpr1
; %bb.71:                               ;   in Loop: Header=BB62_8 Depth=1
	s_andn2_saveexec_b64 s[22:23], s[22:23]
; %bb.72:                               ;   in Loop: Header=BB62_8 Depth=1
	v_or_b32_e32 v0, 0x10000, v1
	v_cmp_eq_u32_sdwa vcc, v1, v107 src0_sel:WORD_0 src1_sel:DWORD
	s_nop 1
	v_cndmask_b32_e32 v0, v0, v1, vcc
; %bb.73:                               ;   in Loop: Header=BB62_8 Depth=1
	s_or_b64 exec, exec, s[22:23]
	v_add_u32_e32 v6, 1, v106
	v_mov_b32_e32 v7, v107
	v_lshl_add_u64 v[6:7], v[6:7], 1, s[12:13]
	global_store_short_d16_hi v[6:7], v0, off
	v_mul_f32_e32 v0, s7, v4
	v_mul_f32_e32 v1, s24, v0
	v_and_b32_e32 v0, 0x7f800000, v1
	v_cmp_ne_u32_e32 vcc, s26, v0
                                        ; implicit-def: $vgpr0
	s_and_saveexec_b64 s[22:23], vcc
	s_xor_b64 s[22:23], exec, s[22:23]
; %bb.74:                               ;   in Loop: Header=BB62_8 Depth=1
	v_bfe_u32 v0, v1, 16, 1
	v_add3_u32 v0, v1, v0, s27
                                        ; implicit-def: $vgpr1
; %bb.75:                               ;   in Loop: Header=BB62_8 Depth=1
	s_andn2_saveexec_b64 s[22:23], s[22:23]
; %bb.76:                               ;   in Loop: Header=BB62_8 Depth=1
	v_or_b32_e32 v0, 0x10000, v1
	v_cmp_eq_u32_sdwa vcc, v1, v107 src0_sel:WORD_0 src1_sel:DWORD
	s_nop 1
	v_cndmask_b32_e32 v0, v0, v1, vcc
; %bb.77:                               ;   in Loop: Header=BB62_8 Depth=1
	s_or_b64 exec, exec, s[22:23]
	v_add_u32_e32 v4, 2, v106
	v_mov_b32_e32 v5, v107
	v_lshl_add_u64 v[4:5], v[4:5], 1, s[12:13]
	global_store_short_d16_hi v[4:5], v0, off
	v_mul_f32_e32 v0, s7, v3
	v_mul_f32_e32 v1, s24, v0
	v_and_b32_e32 v0, 0x7f800000, v1
	v_cmp_ne_u32_e32 vcc, s26, v0
                                        ; implicit-def: $vgpr0
	s_and_saveexec_b64 s[22:23], vcc
	s_xor_b64 s[22:23], exec, s[22:23]
; %bb.78:                               ;   in Loop: Header=BB62_8 Depth=1
	v_bfe_u32 v0, v1, 16, 1
	v_add3_u32 v0, v1, v0, s27
                                        ; implicit-def: $vgpr1
; %bb.79:                               ;   in Loop: Header=BB62_8 Depth=1
	s_andn2_saveexec_b64 s[22:23], s[22:23]
	s_cbranch_execz .LBB62_6
; %bb.80:                               ;   in Loop: Header=BB62_8 Depth=1
	v_or_b32_e32 v0, 0x10000, v1
	v_cmp_eq_u32_sdwa vcc, v1, v107 src0_sel:WORD_0 src1_sel:DWORD
	s_nop 1
	v_cndmask_b32_e32 v0, v0, v1, vcc
	s_branch .LBB62_6
.LBB62_81:
	s_endpgm
	.section	.rodata,"a",@progbits
	.p2align	6, 0x0
	.amdhsa_kernel _Z17wvSplitKQ_hf_sml_I14__hip_bfloat16N3c1015Float8_e4m3fnuzELi64ELi4ELi16ELi16ELi1ELi4EEviiiPKT0_S5_PT_PKfS9_ii
		.amdhsa_group_segment_fixed_size 65536
		.amdhsa_private_segment_fixed_size 1984
		.amdhsa_kernarg_size 64
		.amdhsa_user_sgpr_count 2
		.amdhsa_user_sgpr_dispatch_ptr 0
		.amdhsa_user_sgpr_queue_ptr 0
		.amdhsa_user_sgpr_kernarg_segment_ptr 1
		.amdhsa_user_sgpr_dispatch_id 0
		.amdhsa_user_sgpr_kernarg_preload_length 0
		.amdhsa_user_sgpr_kernarg_preload_offset 0
		.amdhsa_user_sgpr_private_segment_size 0
		.amdhsa_uses_dynamic_stack 0
		.amdhsa_enable_private_segment 1
		.amdhsa_system_sgpr_workgroup_id_x 1
		.amdhsa_system_sgpr_workgroup_id_y 0
		.amdhsa_system_sgpr_workgroup_id_z 0
		.amdhsa_system_sgpr_workgroup_info 0
		.amdhsa_system_vgpr_workitem_id 1
		.amdhsa_next_free_vgpr 128
		.amdhsa_next_free_sgpr 28
		.amdhsa_accum_offset 128
		.amdhsa_reserve_vcc 1
		.amdhsa_float_round_mode_32 0
		.amdhsa_float_round_mode_16_64 0
		.amdhsa_float_denorm_mode_32 3
		.amdhsa_float_denorm_mode_16_64 3
		.amdhsa_dx10_clamp 1
		.amdhsa_ieee_mode 1
		.amdhsa_fp16_overflow 0
		.amdhsa_tg_split 0
		.amdhsa_exception_fp_ieee_invalid_op 0
		.amdhsa_exception_fp_denorm_src 0
		.amdhsa_exception_fp_ieee_div_zero 0
		.amdhsa_exception_fp_ieee_overflow 0
		.amdhsa_exception_fp_ieee_underflow 0
		.amdhsa_exception_fp_ieee_inexact 0
		.amdhsa_exception_int_div_zero 0
	.end_amdhsa_kernel
	.section	.text._Z17wvSplitKQ_hf_sml_I14__hip_bfloat16N3c1015Float8_e4m3fnuzELi64ELi4ELi16ELi16ELi1ELi4EEviiiPKT0_S5_PT_PKfS9_ii,"axG",@progbits,_Z17wvSplitKQ_hf_sml_I14__hip_bfloat16N3c1015Float8_e4m3fnuzELi64ELi4ELi16ELi16ELi1ELi4EEviiiPKT0_S5_PT_PKfS9_ii,comdat
.Lfunc_end62:
	.size	_Z17wvSplitKQ_hf_sml_I14__hip_bfloat16N3c1015Float8_e4m3fnuzELi64ELi4ELi16ELi16ELi1ELi4EEviiiPKT0_S5_PT_PKfS9_ii, .Lfunc_end62-_Z17wvSplitKQ_hf_sml_I14__hip_bfloat16N3c1015Float8_e4m3fnuzELi64ELi4ELi16ELi16ELi1ELi4EEviiiPKT0_S5_PT_PKfS9_ii
                                        ; -- End function
	.section	.AMDGPU.csdata,"",@progbits
; Kernel info:
; codeLenInByte = 8944
; NumSgprs: 34
; NumVgprs: 128
; NumAgprs: 0
; TotalNumVgprs: 128
; ScratchSize: 1984
; MemoryBound: 0
; FloatMode: 240
; IeeeMode: 1
; LDSByteSize: 65536 bytes/workgroup (compile time only)
; SGPRBlocks: 4
; VGPRBlocks: 15
; NumSGPRsForWavesPerEU: 34
; NumVGPRsForWavesPerEU: 128
; AccumOffset: 128
; Occupancy: 4
; WaveLimiterHint : 1
; COMPUTE_PGM_RSRC2:SCRATCH_EN: 1
; COMPUTE_PGM_RSRC2:USER_SGPR: 2
; COMPUTE_PGM_RSRC2:TRAP_HANDLER: 0
; COMPUTE_PGM_RSRC2:TGID_X_EN: 1
; COMPUTE_PGM_RSRC2:TGID_Y_EN: 0
; COMPUTE_PGM_RSRC2:TGID_Z_EN: 0
; COMPUTE_PGM_RSRC2:TIDIG_COMP_CNT: 1
; COMPUTE_PGM_RSRC3_GFX90A:ACCUM_OFFSET: 31
; COMPUTE_PGM_RSRC3_GFX90A:TG_SPLIT: 0
	.section	.text._Z13wvSplitKQ_hf_I14__hip_bfloat16N3c1015Float8_e4m3fnuzELi64ELi7ELi16ELi16ELi1ELi4EEviiiPKT0_S5_PT_PKfS9_ii,"axG",@progbits,_Z13wvSplitKQ_hf_I14__hip_bfloat16N3c1015Float8_e4m3fnuzELi64ELi7ELi16ELi16ELi1ELi4EEviiiPKT0_S5_PT_PKfS9_ii,comdat
	.protected	_Z13wvSplitKQ_hf_I14__hip_bfloat16N3c1015Float8_e4m3fnuzELi64ELi7ELi16ELi16ELi1ELi4EEviiiPKT0_S5_PT_PKfS9_ii ; -- Begin function _Z13wvSplitKQ_hf_I14__hip_bfloat16N3c1015Float8_e4m3fnuzELi64ELi7ELi16ELi16ELi1ELi4EEviiiPKT0_S5_PT_PKfS9_ii
	.globl	_Z13wvSplitKQ_hf_I14__hip_bfloat16N3c1015Float8_e4m3fnuzELi64ELi7ELi16ELi16ELi1ELi4EEviiiPKT0_S5_PT_PKfS9_ii
	.p2align	8
	.type	_Z13wvSplitKQ_hf_I14__hip_bfloat16N3c1015Float8_e4m3fnuzELi64ELi7ELi16ELi16ELi1ELi4EEviiiPKT0_S5_PT_PKfS9_ii,@function
_Z13wvSplitKQ_hf_I14__hip_bfloat16N3c1015Float8_e4m3fnuzELi64ELi7ELi16ELi16ELi1ELi4EEviiiPKT0_S5_PT_PKfS9_ii: ; @_Z13wvSplitKQ_hf_I14__hip_bfloat16N3c1015Float8_e4m3fnuzELi64ELi7ELi16ELi16ELi1ELi4EEviiiPKT0_S5_PT_PKfS9_ii
; %bb.0:
	s_load_dwordx4 s[20:23], s[0:1], 0x0
	s_load_dwordx2 s[24:25], s[0:1], 0x18
	s_load_dwordx4 s[4:7], s[0:1], 0x28
	v_bfe_u32 v1, v0, 10, 10
	v_and_b32_e32 v0, 0x3ff, v0
	v_lshlrev_b32_e32 v4, 4, v0
	v_mov_b32_e32 v2, v4
	s_waitcnt lgkmcnt(0)
	s_lshl_b32 s3, s20, 2
	scratch_store_dwordx2 off, v[2:3], off offset:3704 ; 8-byte Folded Spill
	v_lshl_add_u32 v2, v1, 10, v4
	s_min_i32 s3, s3, 0x10000
	v_cmp_gt_u32_e32 vcc, s3, v2
	s_and_saveexec_b64 s[8:9], vcc
	s_cbranch_execz .LBB63_3
; %bb.1:
	s_mov_b64 s[10:11], 0
.LBB63_2:                               ; =>This Inner Loop Header: Depth=1
	global_load_dwordx4 v[4:7], v2, s[24:25]
	s_waitcnt vmcnt(0)
	ds_write_b128 v2, v[4:7]
	v_add_u32_e32 v2, 0x4000, v2
	v_cmp_le_u32_e32 vcc, s3, v2
	s_or_b64 s[10:11], vcc, s[10:11]
	s_andn2_b64 exec, exec, s[10:11]
	s_cbranch_execnz .LBB63_2
.LBB63_3:
	s_or_b64 exec, exec, s[8:9]
	s_load_dwordx2 s[8:9], s[0:1], 0x38
	s_waitcnt lgkmcnt(0)
	s_barrier
	v_cmp_gt_u32_e32 vcc, s8, v1
	s_and_saveexec_b64 s[10:11], vcc
	s_cbranch_execz .LBB63_179
; %bb.4:
	s_mul_i32 s2, s2, s8
	v_add_u32_e32 v1, s2, v1
	v_mul_lo_u32 v8, v1, 7
	v_cmp_gt_u32_e32 vcc, s22, v8
	s_and_b64 exec, exec, vcc
	s_cbranch_execz .LBB63_179
; %bb.5:
	s_load_dword s23, s[4:5], 0x0
	s_load_dword s33, s[6:7], 0x0
	s_load_dwordx2 s[26:27], s[0:1], 0x10
	s_load_dwordx2 s[28:29], s[0:1], 0x20
	scratch_load_dwordx2 v[2:3], off, off offset:3704 ; 8-byte Folded Reload
	s_mov_b32 s4, 0
	v_cmp_eq_u32_e64 s[0:1], 0, v0
	v_mul_lo_u32 v0, s21, v1
	s_mov_b32 s5, s4
	s_mov_b32 s6, s4
	;; [unrolled: 1-line block ×3, first 2 shown]
	s_mul_i32 s38, s8, s9
	s_cmp_lg_u32 s20, 0
	s_mul_i32 s38, s38, 7
	s_cselect_b64 s[30:31], -1, 0
	s_lshl_b32 s39, s22, 1
	s_mul_i32 s40, s22, 3
	s_mul_i32 s41, s38, s21
	s_ashr_i32 s35, s21, 31
	s_mov_b32 s34, s21
	s_mov_b64 s[36:37], 0
	s_mov_b32 s21, 0xffff
	s_mov_b32 s42, 0x7f800000
	s_movk_i32 s43, 0x7fff
	s_waitcnt vmcnt(0)
	v_mad_u64_u32 v[0:1], s[2:3], v0, 7, v[2:3]
	scratch_store_dwordx2 off, v[0:1], off offset:3848 ; 8-byte Folded Spill
	v_mov_b64_e32 v[0:1], s[4:5]
	v_mov_b64_e32 v[2:3], s[6:7]
	scratch_store_dwordx4 off, v[0:3], off offset:3856 ; 16-byte Folded Spill
	s_nop 1
	v_mov_b32_e32 v1, 0
	scratch_store_dwordx2 off, v[0:1], off offset:1904 ; 8-byte Folded Spill
	v_mbcnt_lo_u32_b32 v0, -1, 0
	v_mbcnt_hi_u32_b32 v0, -1, v0
	v_lshlrev_b32_e32 v0, 2, v0
	v_and_b32_e32 v20, 0x100, v0
	scratch_store_dword off, v20, off offset:3872 ; 4-byte Folded Spill
	s_branch .LBB63_8
.LBB63_6:                               ;   in Loop: Header=BB63_8 Depth=1
	s_or_b64 exec, exec, s[2:3]
	scratch_load_dwordx2 v[2:3], off, off offset:1904 ; 8-byte Folded Reload
	v_add_u32_e32 v4, s40, v0
	s_waitcnt vmcnt(0)
	v_mov_b32_e32 v5, v3
	scratch_store_dwordx2 off, v[2:3], off offset:1904 ; 8-byte Folded Spill
	v_lshl_add_u64 v[2:3], v[4:5], 1, s[28:29]
	global_store_short_d16_hi v[2:3], v1, off
.LBB63_7:                               ;   in Loop: Header=BB63_8 Depth=1
	s_or_b64 exec, exec, s[6:7]
	scratch_load_dwordx2 v[0:1], off, off offset:3848 ; 8-byte Folded Reload
	s_waitcnt vmcnt(1)
	v_add_u32_e32 v8, s38, v8
	v_cmp_le_u32_e32 vcc, s22, v8
	s_or_b64 s[36:37], vcc, s[36:37]
	s_waitcnt vmcnt(0)
	v_add_u32_e32 v0, s41, v0
	scratch_store_dwordx2 off, v[0:1], off offset:3848 ; 8-byte Folded Spill
	s_andn2_b64 exec, exec, s[36:37]
	s_cbranch_execz .LBB63_179
.LBB63_8:                               ; =>This Loop Header: Depth=1
                                        ;     Child Loop BB63_12 Depth 2
                                        ;       Child Loop BB63_14 Depth 3
                                        ;     Child Loop BB63_32 Depth 2
                                        ;     Child Loop BB63_34 Depth 2
	;; [unrolled: 1-line block ×4, first 2 shown]
	scratch_load_dwordx4 v[0:3], off, off offset:3856 ; 16-byte Folded Reload
	s_and_b64 vcc, exec, s[30:31]
	scratch_store_dwordx2 off, v[8:9], off offset:3840 ; 8-byte Folded Spill
	s_waitcnt vmcnt(1)
	scratch_store_dwordx4 off, v[0:3], off offset:48
	scratch_store_dwordx4 off, v[0:3], off offset:32
	;; [unrolled: 1-line block ×3, first 2 shown]
	scratch_store_dwordx4 off, v[0:3], off
	scratch_store_dwordx4 off, v[0:3], off offset:496
	scratch_store_dwordx4 off, v[0:3], off offset:480
	;; [unrolled: 1-line block ×108, first 2 shown]
	s_cbranch_vccz .LBB63_31
; %bb.9:                                ;   in Loop: Header=BB63_8 Depth=1
	scratch_load_dwordx2 v[16:17], off, off offset:3848 ; 8-byte Folded Reload
	scratch_load_dwordx2 v[18:19], off, off offset:1904 ; 8-byte Folded Reload
	s_mov_b32 s5, s4
	s_mov_b32 s6, s4
	;; [unrolled: 1-line block ×15, first 2 shown]
	v_mov_b64_e32 v[0:1], s[4:5]
	v_mov_b64_e32 v[14:15], s[18:19]
	;; [unrolled: 1-line block ×9, first 2 shown]
	s_mov_b32 s44, 0
	v_mov_b64_e32 v[124:125], v[12:13]
	v_mov_b64_e32 v[122:123], v[10:11]
	;; [unrolled: 1-line block ×7, first 2 shown]
	s_waitcnt vmcnt(0)
	v_mov_b32_e32 v18, v16
	scratch_store_dwordx2 off, v[18:19], off offset:1904 ; 8-byte Folded Spill
	scratch_store_dwordx4 off, v[0:3], off offset:3320 ; 16-byte Folded Spill
	s_nop 0
	scratch_store_dwordx4 off, v[4:7], off offset:3336 ; 16-byte Folded Spill
	scratch_store_dwordx4 off, v[8:11], off offset:3352 ; 16-byte Folded Spill
	scratch_store_dwordx4 off, v[12:15], off offset:3368 ; 16-byte Folded Spill
	scratch_store_dwordx4 off, v[0:3], off offset:3384 ; 16-byte Folded Spill
	s_nop 0
	scratch_store_dwordx4 off, v[4:7], off offset:3400 ; 16-byte Folded Spill
	scratch_store_dwordx4 off, v[8:11], off offset:3416 ; 16-byte Folded Spill
	scratch_store_dwordx4 off, v[12:15], off offset:3432 ; 16-byte Folded Spill
	;; [unrolled: 5-line block ×27, first 2 shown]
	s_branch .LBB63_12
.LBB63_10:                              ;   in Loop: Header=BB63_12 Depth=2
	s_or_b64 exec, exec, s[6:7]
	scratch_load_dwordx4 v[120:123], off, off offset:1792
	scratch_load_dwordx4 v[16:19], off, off offset:1808
	s_waitcnt vmcnt(0)
	scratch_store_dwordx4 off, v[16:19], off offset:3824 ; 16-byte Folded Spill
	scratch_load_dwordx4 v[0:3], off, off offset:2744 ; 16-byte Folded Reload
	scratch_load_dwordx4 v[4:7], off, off offset:2760 ; 16-byte Folded Reload
	;; [unrolled: 1-line block ×8, first 2 shown]
	s_waitcnt vmcnt(0) lgkmcnt(0)
	v_mfma_f32_32x32x16_fp8_fp8 v[52:67], v[48:49], v[16:17], v[52:67]
	s_nop 7
	s_nop 2
	v_mov_b64_e32 v[70:71], v[66:67]
	v_mov_b64_e32 v[68:69], v[64:65]
	;; [unrolled: 1-line block ×8, first 2 shown]
	scratch_load_dwordx4 v[52:55], off, off offset:1824
	scratch_load_dwordx4 v[20:23], off, off offset:1840
	v_mfma_f32_32x32x16_fp8_fp8 v[0:15], v[48:49], v[120:121], v[0:15]
	s_waitcnt vmcnt(0)
	scratch_store_dwordx4 off, v[20:23], off offset:3808 ; 16-byte Folded Spill
	scratch_load_dwordx4 v[72:75], off, off offset:2616 ; 16-byte Folded Reload
	scratch_load_dwordx4 v[76:79], off, off offset:2632 ; 16-byte Folded Reload
	;; [unrolled: 1-line block ×8, first 2 shown]
	scratch_load_dwordx4 v[16:19], off, off offset:1856
	scratch_load_dwordx4 v[32:35], off, off offset:1872
	v_mfma_f32_32x32x16_fp8_fp8 v[0:15], v[50:51], v[122:123], v[0:15]
	s_waitcnt vmcnt(1)
	scratch_store_dwordx4 off, v[16:19], off offset:3792 ; 16-byte Folded Spill
	s_waitcnt vmcnt(1)
	scratch_store_dwordx4 off, v[32:35], off offset:3304 ; 16-byte Folded Spill
	scratch_load_dwordx4 v[104:107], off, off offset:2488 ; 16-byte Folded Reload
	scratch_load_dwordx4 v[108:111], off, off offset:2504 ; 16-byte Folded Reload
	scratch_load_dwordx4 v[112:115], off, off offset:2520 ; 16-byte Folded Reload
	scratch_load_dwordx4 v[116:119], off, off offset:2536 ; 16-byte Folded Reload
	v_mfma_f32_32x32x16_fp8_fp8 v[88:103], v[48:49], v[20:21], v[88:103]
	v_mfma_f32_32x32x16_fp8_fp8 v[72:87], v[48:49], v[52:53], v[72:87]
	;; [unrolled: 1-line block ×3, first 2 shown]
	s_waitcnt vmcnt(0)
	v_mfma_f32_32x32x16_fp8_fp8 v[104:119], v[48:49], v[16:17], v[104:119]
	scratch_load_dwordx4 v[16:19], off, off offset:2424 ; 16-byte Folded Reload
	scratch_load_dwordx4 v[20:23], off, off offset:2440 ; 16-byte Folded Reload
	;; [unrolled: 1-line block ×4, first 2 shown]
	s_waitcnt vmcnt(0)
	v_mfma_f32_32x32x16_fp8_fp8 v[16:31], v[48:49], v[32:33], v[16:31]
	scratch_load_dwordx4 v[124:127], off, off offset:1888
	scratch_load_dwordx4 v[32:35], off, off offset:1976 ; 16-byte Folded Reload
	scratch_load_dwordx4 v[36:39], off, off offset:1992 ; 16-byte Folded Reload
	;; [unrolled: 1-line block ×4, first 2 shown]
	s_waitcnt vmcnt(0)
	v_mfma_f32_32x32x16_fp8_fp8 v[32:47], v[48:49], v[124:125], v[32:47]
	s_nop 7
	s_nop 2
	scratch_store_dwordx4 off, v[32:35], off offset:1976 ; 16-byte Folded Spill
	s_nop 0
	scratch_store_dwordx4 off, v[36:39], off offset:1992 ; 16-byte Folded Spill
	scratch_store_dwordx4 off, v[40:43], off offset:2008 ; 16-byte Folded Spill
	;; [unrolled: 1-line block ×4, first 2 shown]
	s_nop 0
	scratch_store_dwordx4 off, v[4:7], off offset:2760 ; 16-byte Folded Spill
	scratch_store_dwordx4 off, v[8:11], off offset:2776 ; 16-byte Folded Spill
	;; [unrolled: 1-line block ×3, first 2 shown]
	scratch_load_dwordx4 v[40:43], off, off offset:3824 ; 16-byte Folded Reload
	s_waitcnt vmcnt(0)
	v_mfma_f32_32x32x16_fp8_fp8 v[56:71], v[50:51], v[42:43], v[56:71]
	s_nop 7
	s_nop 2
	scratch_store_dwordx4 off, v[56:59], off offset:2680 ; 16-byte Folded Spill
	s_nop 0
	scratch_store_dwordx4 off, v[60:63], off offset:2696 ; 16-byte Folded Spill
	scratch_store_dwordx4 off, v[64:67], off offset:2712 ; 16-byte Folded Spill
	;; [unrolled: 1-line block ×4, first 2 shown]
	s_nop 0
	scratch_store_dwordx4 off, v[76:79], off offset:2632 ; 16-byte Folded Spill
	scratch_store_dwordx4 off, v[80:83], off offset:2648 ; 16-byte Folded Spill
	;; [unrolled: 1-line block ×3, first 2 shown]
	scratch_load_dwordx4 v[60:63], off, off offset:3808 ; 16-byte Folded Reload
	v_mov_b64_e32 v[32:33], v[40:41]
	v_mov_b64_e32 v[34:35], v[42:43]
	s_waitcnt vmcnt(0)
	v_mfma_f32_32x32x16_fp8_fp8 v[88:103], v[50:51], v[62:63], v[88:103]
	s_nop 7
	s_nop 2
	scratch_store_dwordx4 off, v[88:91], off offset:2552 ; 16-byte Folded Spill
	s_nop 0
	scratch_store_dwordx4 off, v[92:95], off offset:2568 ; 16-byte Folded Spill
	scratch_store_dwordx4 off, v[96:99], off offset:2584 ; 16-byte Folded Spill
	;; [unrolled: 1-line block ×3, first 2 shown]
	scratch_load_dwordx4 v[36:39], off, off offset:3792 ; 16-byte Folded Reload
	v_mov_b64_e32 v[40:41], v[60:61]
	v_mov_b64_e32 v[42:43], v[62:63]
	s_waitcnt vmcnt(0)
	v_mfma_f32_32x32x16_fp8_fp8 v[104:119], v[50:51], v[38:39], v[104:119]
	s_nop 7
	s_nop 2
	scratch_store_dwordx4 off, v[104:107], off offset:2488 ; 16-byte Folded Spill
	s_nop 0
	scratch_store_dwordx4 off, v[108:111], off offset:2504 ; 16-byte Folded Spill
	scratch_store_dwordx4 off, v[112:115], off offset:2520 ; 16-byte Folded Spill
	scratch_store_dwordx4 off, v[116:119], off offset:2536 ; 16-byte Folded Spill
	scratch_load_dwordx4 v[44:47], off, off offset:3304 ; 16-byte Folded Reload
	s_waitcnt vmcnt(0)
	v_mfma_f32_32x32x16_fp8_fp8 v[16:31], v[50:51], v[46:47], v[16:31]
	s_nop 7
	s_nop 2
	scratch_store_dwordx4 off, v[16:19], off offset:2424 ; 16-byte Folded Spill
	s_nop 0
	scratch_store_dwordx4 off, v[20:23], off offset:2440 ; 16-byte Folded Spill
	scratch_store_dwordx4 off, v[24:27], off offset:2456 ; 16-byte Folded Spill
	;; [unrolled: 1-line block ×3, first 2 shown]
	scratch_load_dwordx4 v[0:3], off, off offset:1976 ; 16-byte Folded Reload
	scratch_load_dwordx4 v[4:7], off, off offset:1992 ; 16-byte Folded Reload
	;; [unrolled: 1-line block ×4, first 2 shown]
	s_waitcnt vmcnt(0)
	v_mfma_f32_32x32x16_fp8_fp8 v[0:15], v[50:51], v[126:127], v[0:15]
	s_nop 7
	s_nop 2
	scratch_store_dwordx4 off, v[0:3], off offset:1976 ; 16-byte Folded Spill
	s_nop 0
	scratch_store_dwordx4 off, v[4:7], off offset:1992 ; 16-byte Folded Spill
	scratch_store_dwordx4 off, v[8:11], off offset:2008 ; 16-byte Folded Spill
	;; [unrolled: 1-line block ×3, first 2 shown]
	v_mov_b64_e32 v[48:49], v[120:121]
	scratch_load_dwordx4 v[16:19], off, off offset:3192 ; 16-byte Folded Reload
	scratch_load_dwordx4 v[20:23], off, off offset:3208 ; 16-byte Folded Reload
	;; [unrolled: 1-line block ×4, first 2 shown]
	v_mov_b64_e32 v[50:51], v[122:123]
	scratch_load_dwordx4 v[120:123], off, off offset:3288 ; 16-byte Folded Reload
	s_waitcnt vmcnt(0)
	v_mfma_f32_32x32x16_fp8_fp8 v[16:31], v[120:121], v[48:49], v[16:31]
	scratch_store_dwordx4 off, v[48:51], off offset:3776 ; 16-byte Folded Spill
	scratch_load_dwordx4 v[0:3], off, off offset:3128 ; 16-byte Folded Reload
	scratch_load_dwordx4 v[4:7], off, off offset:3144 ; 16-byte Folded Reload
	scratch_load_dwordx4 v[8:11], off, off offset:3160 ; 16-byte Folded Reload
	scratch_load_dwordx4 v[12:15], off, off offset:3176 ; 16-byte Folded Reload
	s_waitcnt vmcnt(0)
	v_mfma_f32_32x32x16_fp8_fp8 v[0:15], v[120:121], v[32:33], v[0:15]
	s_nop 7
	s_nop 2
	v_mov_b64_e32 v[118:119], v[14:15]
	v_mov_b64_e32 v[116:117], v[12:13]
	v_mov_b64_e32 v[114:115], v[10:11]
	v_mov_b64_e32 v[112:113], v[8:9]
	v_mov_b64_e32 v[110:111], v[6:7]
	v_mov_b64_e32 v[108:109], v[4:5]
	v_mov_b64_e32 v[106:107], v[2:3]
	v_mov_b64_e32 v[104:105], v[0:1]
	scratch_load_dwordx4 v[0:3], off, off offset:3064 ; 16-byte Folded Reload
	scratch_load_dwordx4 v[4:7], off, off offset:3080 ; 16-byte Folded Reload
	scratch_load_dwordx4 v[8:11], off, off offset:3096 ; 16-byte Folded Reload
	scratch_load_dwordx4 v[12:15], off, off offset:3112 ; 16-byte Folded Reload
	s_waitcnt vmcnt(0)
	v_mfma_f32_32x32x16_fp8_fp8 v[0:15], v[120:121], v[52:53], v[0:15]
	s_nop 7
	s_nop 2
	v_mov_b64_e32 v[102:103], v[14:15]
	v_mov_b64_e32 v[100:101], v[12:13]
	v_mov_b64_e32 v[98:99], v[10:11]
	v_mov_b64_e32 v[96:97], v[8:9]
	v_mov_b64_e32 v[94:95], v[6:7]
	v_mov_b64_e32 v[92:93], v[4:5]
	v_mov_b64_e32 v[90:91], v[2:3]
	v_mov_b64_e32 v[88:89], v[0:1]
	;; [unrolled: 16-line block ×4, first 2 shown]
	scratch_load_dwordx4 v[0:3], off, off offset:2040 ; 16-byte Folded Reload
	scratch_load_dwordx4 v[4:7], off, off offset:2056 ; 16-byte Folded Reload
	;; [unrolled: 1-line block ×4, first 2 shown]
	s_waitcnt vmcnt(0)
	v_mfma_f32_32x32x16_fp8_fp8 v[0:15], v[120:121], v[44:45], v[0:15]
	s_nop 7
	s_nop 2
	scratch_store_dwordx4 off, v[0:3], off offset:2040 ; 16-byte Folded Spill
	s_nop 0
	scratch_store_dwordx4 off, v[4:7], off offset:2056 ; 16-byte Folded Spill
	scratch_store_dwordx4 off, v[8:11], off offset:2072 ; 16-byte Folded Spill
	;; [unrolled: 1-line block ×3, first 2 shown]
	v_mfma_f32_32x32x16_fp8_fp8 v[16:31], v[122:123], v[50:51], v[16:31]
	v_mov_b64_e32 v[50:51], v[38:39]
	scratch_load_dwordx4 v[0:3], off, off offset:2872 ; 16-byte Folded Reload
	scratch_load_dwordx4 v[4:7], off, off offset:2888 ; 16-byte Folded Reload
	;; [unrolled: 1-line block ×4, first 2 shown]
	s_nop 5
	scratch_store_dwordx4 off, v[16:19], off offset:3192 ; 16-byte Folded Spill
	s_nop 0
	scratch_store_dwordx4 off, v[20:23], off offset:3208 ; 16-byte Folded Spill
	scratch_store_dwordx4 off, v[24:27], off offset:3224 ; 16-byte Folded Spill
	;; [unrolled: 1-line block ×3, first 2 shown]
	v_mfma_f32_32x32x16_fp8_fp8 v[104:119], v[122:123], v[34:35], v[104:119]
	s_nop 7
	s_nop 2
	scratch_store_dwordx4 off, v[104:107], off offset:3128 ; 16-byte Folded Spill
	s_nop 0
	scratch_store_dwordx4 off, v[108:111], off offset:3144 ; 16-byte Folded Spill
	scratch_store_dwordx4 off, v[112:115], off offset:3160 ; 16-byte Folded Spill
	;; [unrolled: 1-line block ×3, first 2 shown]
	v_mfma_f32_32x32x16_fp8_fp8 v[88:103], v[122:123], v[54:55], v[88:103]
	s_nop 7
	s_nop 2
	scratch_store_dwordx4 off, v[88:91], off offset:3064 ; 16-byte Folded Spill
	s_nop 0
	scratch_store_dwordx4 off, v[92:95], off offset:3080 ; 16-byte Folded Spill
	scratch_store_dwordx4 off, v[96:99], off offset:3096 ; 16-byte Folded Spill
	;; [unrolled: 1-line block ×3, first 2 shown]
	v_mfma_f32_32x32x16_fp8_fp8 v[72:87], v[122:123], v[42:43], v[72:87]
	v_mov_b64_e32 v[16:17], v[32:33]
	v_mov_b64_e32 v[90:91], v[42:43]
	s_nop 7
	s_nop 0
	scratch_store_dwordx4 off, v[72:75], off offset:3000 ; 16-byte Folded Spill
	s_nop 0
	scratch_store_dwordx4 off, v[76:79], off offset:3016 ; 16-byte Folded Spill
	scratch_store_dwordx4 off, v[80:83], off offset:3032 ; 16-byte Folded Spill
	;; [unrolled: 1-line block ×3, first 2 shown]
	v_mfma_f32_32x32x16_fp8_fp8 v[56:71], v[122:123], v[50:51], v[56:71]
	s_nop 7
	s_nop 2
	scratch_store_dwordx4 off, v[56:59], off offset:2936 ; 16-byte Folded Spill
	s_nop 0
	scratch_store_dwordx4 off, v[60:63], off offset:2952 ; 16-byte Folded Spill
	scratch_store_dwordx4 off, v[64:67], off offset:2968 ; 16-byte Folded Spill
	;; [unrolled: 1-line block ×3, first 2 shown]
	v_mov_b64_e32 v[18:19], v[34:35]
	v_mov_b64_e32 v[88:89], v[40:41]
	;; [unrolled: 1-line block ×3, first 2 shown]
	scratch_load_dwordx4 v[28:31], off, off offset:2040 ; 16-byte Folded Reload
	scratch_load_dwordx4 v[32:35], off, off offset:2056 ; 16-byte Folded Reload
	;; [unrolled: 1-line block ×4, first 2 shown]
	s_waitcnt vmcnt(24)
	v_mfma_f32_32x32x16_fp8_fp8 v[0:15], v[120:121], v[124:125], v[0:15]
	v_mov_b64_e32 v[72:73], v[88:89]
	v_mov_b64_e32 v[74:75], v[90:91]
	s_waitcnt vmcnt(0)
	v_mfma_f32_32x32x16_fp8_fp8 v[28:43], v[122:123], v[46:47], v[28:43]
	s_nop 7
	s_nop 2
	scratch_store_dwordx4 off, v[28:31], off offset:2040 ; 16-byte Folded Spill
	s_nop 0
	scratch_store_dwordx4 off, v[32:35], off offset:2056 ; 16-byte Folded Spill
	scratch_store_dwordx4 off, v[36:39], off offset:2072 ; 16-byte Folded Spill
	;; [unrolled: 1-line block ×3, first 2 shown]
	v_mfma_f32_32x32x16_fp8_fp8 v[0:15], v[122:123], v[126:127], v[0:15]
	s_nop 7
	s_nop 2
	scratch_store_dwordx4 off, v[0:3], off offset:2872 ; 16-byte Folded Spill
	s_nop 0
	scratch_store_dwordx4 off, v[4:7], off offset:2888 ; 16-byte Folded Spill
	scratch_store_dwordx4 off, v[8:11], off offset:2904 ; 16-byte Folded Spill
	scratch_store_dwordx4 off, v[12:15], off offset:2920 ; 16-byte Folded Spill
	v_mov_b64_e32 v[42:43], v[18:19]
	scratch_load_dwordx4 v[20:23], off, off offset:2808 ; 16-byte Folded Reload
	scratch_load_dwordx4 v[24:27], off, off offset:2824 ; 16-byte Folded Reload
	;; [unrolled: 1-line block ×10, first 2 shown]
	v_mov_b64_e32 v[40:41], v[16:17]
	scratch_load_dwordx4 v[4:7], off, off offset:2296 ; 16-byte Folded Reload
	scratch_load_dwordx4 v[8:11], off, off offset:2312 ; 16-byte Folded Reload
	scratch_load_dwordx4 v[12:15], off, off offset:2328 ; 16-byte Folded Reload
	scratch_load_dwordx4 v[16:19], off, off offset:2344 ; 16-byte Folded Reload
	s_waitcnt vmcnt(0)
	v_mfma_f32_32x32x16_fp8_fp8 v[4:19], v[0:1], v[52:53], v[4:19]
	s_nop 7
	s_nop 2
	v_mov_b64_e32 v[122:123], v[18:19]
	v_mov_b64_e32 v[120:121], v[16:17]
	v_mov_b64_e32 v[118:119], v[14:15]
	v_mov_b64_e32 v[116:117], v[12:13]
	v_mov_b64_e32 v[114:115], v[10:11]
	v_mov_b64_e32 v[112:113], v[8:9]
	v_mov_b64_e32 v[110:111], v[6:7]
	v_mov_b64_e32 v[108:109], v[4:5]
	scratch_load_dwordx4 v[4:7], off, off offset:2232 ; 16-byte Folded Reload
	scratch_load_dwordx4 v[8:11], off, off offset:2248 ; 16-byte Folded Reload
	scratch_load_dwordx4 v[12:15], off, off offset:2264 ; 16-byte Folded Reload
	scratch_load_dwordx4 v[16:19], off, off offset:2280 ; 16-byte Folded Reload
	s_waitcnt vmcnt(0)
	v_mfma_f32_32x32x16_fp8_fp8 v[4:19], v[0:1], v[72:73], v[4:19]
	s_nop 7
	s_nop 2
	v_mov_b64_e32 v[106:107], v[18:19]
	v_mov_b64_e32 v[104:105], v[16:17]
	v_mov_b64_e32 v[102:103], v[14:15]
	v_mov_b64_e32 v[100:101], v[12:13]
	v_mov_b64_e32 v[98:99], v[10:11]
	v_mov_b64_e32 v[96:97], v[8:9]
	v_mov_b64_e32 v[94:95], v[6:7]
	;; [unrolled: 16-line block ×3, first 2 shown]
	v_mov_b64_e32 v[76:77], v[4:5]
	scratch_load_dwordx4 v[4:7], off, off offset:1912 ; 16-byte Folded Reload
	scratch_load_dwordx4 v[8:11], off, off offset:1928 ; 16-byte Folded Reload
	;; [unrolled: 1-line block ×4, first 2 shown]
	v_mfma_f32_32x32x16_fp8_fp8 v[20:35], v[0:1], v[36:37], v[20:35]
	v_mfma_f32_32x32x16_fp8_fp8 v[56:71], v[0:1], v[40:41], v[56:71]
	s_waitcnt vmcnt(0)
	v_mfma_f32_32x32x16_fp8_fp8 v[4:19], v[0:1], v[44:45], v[4:19]
	s_nop 7
	s_nop 2
	scratch_store_dwordx4 off, v[4:7], off offset:1912 ; 16-byte Folded Spill
	s_nop 0
	scratch_store_dwordx4 off, v[8:11], off offset:1928 ; 16-byte Folded Spill
	scratch_store_dwordx4 off, v[12:15], off offset:1944 ; 16-byte Folded Spill
	;; [unrolled: 1-line block ×3, first 2 shown]
	v_mfma_f32_32x32x16_fp8_fp8 v[20:35], v[2:3], v[38:39], v[20:35]
	scratch_load_dwordx4 v[4:7], off, off offset:2104 ; 16-byte Folded Reload
	scratch_load_dwordx4 v[8:11], off, off offset:2120 ; 16-byte Folded Reload
	;; [unrolled: 1-line block ×4, first 2 shown]
	s_nop 6
	scratch_store_dwordx4 off, v[20:23], off offset:2808 ; 16-byte Folded Spill
	s_nop 0
	scratch_store_dwordx4 off, v[24:27], off offset:2824 ; 16-byte Folded Spill
	scratch_store_dwordx4 off, v[28:31], off offset:2840 ; 16-byte Folded Spill
	;; [unrolled: 1-line block ×3, first 2 shown]
	v_mfma_f32_32x32x16_fp8_fp8 v[56:71], v[2:3], v[42:43], v[56:71]
	s_nop 7
	s_nop 2
	scratch_store_dwordx4 off, v[56:59], off offset:2360 ; 16-byte Folded Spill
	s_nop 0
	scratch_store_dwordx4 off, v[60:63], off offset:2376 ; 16-byte Folded Spill
	scratch_store_dwordx4 off, v[64:67], off offset:2392 ; 16-byte Folded Spill
	scratch_store_dwordx4 off, v[68:71], off offset:2408 ; 16-byte Folded Spill
	v_mfma_f32_32x32x16_fp8_fp8 v[108:123], v[2:3], v[54:55], v[108:123]
	v_mov_b64_e32 v[32:33], v[40:41]
	s_nop 7
	s_nop 1
	scratch_store_dwordx4 off, v[108:111], off offset:2296 ; 16-byte Folded Spill
	s_nop 0
	scratch_store_dwordx4 off, v[112:115], off offset:2312 ; 16-byte Folded Spill
	scratch_store_dwordx4 off, v[116:119], off offset:2328 ; 16-byte Folded Spill
	scratch_store_dwordx4 off, v[120:123], off offset:2344 ; 16-byte Folded Spill
	v_mfma_f32_32x32x16_fp8_fp8 v[92:107], v[2:3], v[74:75], v[92:107]
	v_mov_b64_e32 v[28:29], v[52:53]
	;; [unrolled: 9-line block ×3, first 2 shown]
	s_nop 7
	s_nop 1
	scratch_store_dwordx4 off, v[76:79], off offset:2168 ; 16-byte Folded Spill
	s_nop 0
	scratch_store_dwordx4 off, v[80:83], off offset:2184 ; 16-byte Folded Spill
	scratch_store_dwordx4 off, v[84:87], off offset:2200 ; 16-byte Folded Spill
	;; [unrolled: 1-line block ×3, first 2 shown]
	v_mov_b64_e32 v[34:35], v[42:43]
	v_mov_b64_e32 v[30:31], v[54:55]
	;; [unrolled: 1-line block ×3, first 2 shown]
	scratch_load_dwordx4 v[40:43], off, off offset:1912 ; 16-byte Folded Reload
	scratch_load_dwordx4 v[44:47], off, off offset:1928 ; 16-byte Folded Reload
	;; [unrolled: 1-line block ×5, first 2 shown]
	s_waitcnt vmcnt(25)
	v_mfma_f32_32x32x16_fp8_fp8 v[4:19], v[0:1], v[124:125], v[4:19]
	v_mov_b64_e32 v[56:57], v[72:73]
	v_mov_b64_e32 v[58:59], v[74:75]
	s_waitcnt vmcnt(0)
	v_mfma_f32_32x32x16_fp8_fp8 v[40:55], v[2:3], v[22:23], v[40:55]
	s_nop 7
	s_nop 2
	scratch_store_dwordx4 off, v[40:43], off offset:1912 ; 16-byte Folded Spill
	s_nop 0
	scratch_store_dwordx4 off, v[44:47], off offset:1928 ; 16-byte Folded Spill
	scratch_store_dwordx4 off, v[48:51], off offset:1944 ; 16-byte Folded Spill
	;; [unrolled: 1-line block ×3, first 2 shown]
	v_mfma_f32_32x32x16_fp8_fp8 v[4:19], v[2:3], v[126:127], v[4:19]
	s_nop 7
	s_nop 2
	scratch_store_dwordx4 off, v[4:7], off offset:2104 ; 16-byte Folded Spill
	s_nop 0
	scratch_store_dwordx4 off, v[8:11], off offset:2120 ; 16-byte Folded Spill
	scratch_store_dwordx4 off, v[12:15], off offset:2136 ; 16-byte Folded Spill
	;; [unrolled: 1-line block ×3, first 2 shown]
	scratch_load_dwordx4 v[0:3], off, off offset:3576 ; 16-byte Folded Reload
	s_nop 0
	scratch_load_dwordx4 v[4:7], off, off offset:3592 ; 16-byte Folded Reload
	scratch_load_dwordx4 v[8:11], off, off offset:3608 ; 16-byte Folded Reload
	scratch_load_dwordx4 v[12:15], off, off offset:3624 ; 16-byte Folded Reload
	scratch_load_dwordx4 v[48:51], off, off offset:3256 ; 16-byte Folded Reload
	scratch_load_dwordx4 v[96:99], off, off offset:3512 ; 16-byte Folded Reload
	scratch_load_dwordx4 v[100:103], off, off offset:3528 ; 16-byte Folded Reload
	scratch_load_dwordx4 v[104:107], off, off offset:3544 ; 16-byte Folded Reload
	scratch_load_dwordx4 v[108:111], off, off offset:3560 ; 16-byte Folded Reload
	s_waitcnt vmcnt(4)
	v_mfma_f32_32x32x16_fp8_fp8 v[0:15], v[48:49], v[36:37], v[0:15]
	scratch_load_dwordx4 v[80:83], off, off offset:3448 ; 16-byte Folded Reload
	scratch_load_dwordx4 v[84:87], off, off offset:3464 ; 16-byte Folded Reload
	;; [unrolled: 1-line block ×8, first 2 shown]
	v_mov_b64_e32 v[52:53], v[124:125]
	v_mov_b64_e32 v[54:55], v[126:127]
	;; [unrolled: 1-line block ×4, first 2 shown]
	s_waitcnt vmcnt(8)
	v_mfma_f32_32x32x16_fp8_fp8 v[96:111], v[48:49], v[32:33], v[96:111]
	v_mfma_f32_32x32x16_fp8_fp8 v[0:15], v[50:51], v[38:39], v[0:15]
	;; [unrolled: 1-line block ×3, first 2 shown]
	scratch_load_dwordx4 v[32:35], off, off offset:3320 ; 16-byte Folded Reload
	scratch_load_dwordx4 v[36:39], off, off offset:3336 ; 16-byte Folded Reload
	;; [unrolled: 1-line block ×8, first 2 shown]
	s_waitcnt vmcnt(12)
	v_mfma_f32_32x32x16_fp8_fp8 v[80:95], v[48:49], v[28:29], v[80:95]
	s_waitcnt vmcnt(4)
	v_mfma_f32_32x32x16_fp8_fp8 v[32:47], v[48:49], v[16:17], v[32:47]
	v_mfma_f32_32x32x16_fp8_fp8 v[80:95], v[50:51], v[30:31], v[80:95]
	v_mov_b64_e32 v[28:29], v[56:57]
	v_mov_b64_e32 v[30:31], v[58:59]
	v_mfma_f32_32x32x16_fp8_fp8 v[32:47], v[50:51], v[18:19], v[32:47]
	v_mov_b64_e32 v[16:17], v[20:21]
	v_mov_b64_e32 v[18:19], v[22:23]
	v_mfma_f32_32x32x16_fp8_fp8 v[64:79], v[48:49], v[28:29], v[64:79]
	s_waitcnt vmcnt(0)
	v_mfma_f32_32x32x16_fp8_fp8 v[112:127], v[48:49], v[16:17], v[112:127]
	v_mfma_f32_32x32x16_fp8_fp8 v[64:79], v[50:51], v[30:31], v[64:79]
	;; [unrolled: 1-line block ×3, first 2 shown]
	scratch_load_dwordx4 v[16:19], off, off offset:3640 ; 16-byte Folded Reload
	scratch_load_dwordx4 v[20:23], off, off offset:3656 ; 16-byte Folded Reload
	;; [unrolled: 1-line block ×4, first 2 shown]
	s_waitcnt vmcnt(0)
	v_mfma_f32_32x32x16_fp8_fp8 v[16:31], v[48:49], v[52:53], v[16:31]
	v_mfma_f32_32x32x16_fp8_fp8 v[16:31], v[50:51], v[54:55], v[16:31]
	scratch_load_dwordx4 v[48:51], off, off offset:2744 ; 16-byte Folded Reload
	scratch_load_dwordx4 v[52:55], off, off offset:2760 ; 16-byte Folded Reload
	;; [unrolled: 1-line block ×4, first 2 shown]
	s_waitcnt vmcnt(0)
	scratch_store_dwordx4 off, v[60:63], off offset:48
	scratch_store_dwordx4 off, v[56:59], off offset:32
	;; [unrolled: 1-line block ×3, first 2 shown]
	scratch_store_dwordx4 off, v[48:51], off
	scratch_load_dwordx4 v[48:51], off, off offset:2680 ; 16-byte Folded Reload
	s_nop 0
	scratch_load_dwordx4 v[52:55], off, off offset:2696 ; 16-byte Folded Reload
	scratch_load_dwordx4 v[56:59], off, off offset:2712 ; 16-byte Folded Reload
	scratch_load_dwordx4 v[60:63], off, off offset:2728 ; 16-byte Folded Reload
	s_waitcnt vmcnt(0)
	scratch_store_dwordx4 off, v[60:63], off offset:112
	scratch_store_dwordx4 off, v[56:59], off offset:96
	scratch_store_dwordx4 off, v[52:55], off offset:80
	scratch_store_dwordx4 off, v[48:51], off offset:64
	scratch_load_dwordx4 v[48:51], off, off offset:2616 ; 16-byte Folded Reload
	s_nop 0
	scratch_load_dwordx4 v[52:55], off, off offset:2632 ; 16-byte Folded Reload
	scratch_load_dwordx4 v[56:59], off, off offset:2648 ; 16-byte Folded Reload
	scratch_load_dwordx4 v[60:63], off, off offset:2664 ; 16-byte Folded Reload
	s_waitcnt vmcnt(0)
	scratch_store_dwordx4 off, v[60:63], off offset:176
	scratch_store_dwordx4 off, v[56:59], off offset:160
	scratch_store_dwordx4 off, v[52:55], off offset:144
	scratch_store_dwordx4 off, v[48:51], off offset:128
	;; [unrolled: 10-line block ×20, first 2 shown]
	scratch_store_dwordx4 off, v[12:15], off offset:1392
	scratch_store_dwordx4 off, v[8:11], off offset:1376
	scratch_store_dwordx4 off, v[4:7], off offset:1360
	scratch_store_dwordx4 off, v[0:3], off offset:3576 ; 16-byte Folded Spill
	s_nop 0
	scratch_store_dwordx4 off, v[4:7], off offset:3592 ; 16-byte Folded Spill
	scratch_store_dwordx4 off, v[8:11], off offset:3608 ; 16-byte Folded Spill
	scratch_store_dwordx4 off, v[12:15], off offset:3624 ; 16-byte Folded Spill
	scratch_store_dwordx4 off, v[0:3], off offset:1344
	scratch_store_dwordx4 off, v[108:111], off offset:1456
	scratch_store_dwordx4 off, v[104:107], off offset:1440
	scratch_store_dwordx4 off, v[100:103], off offset:1424
	scratch_store_dwordx4 off, v[96:99], off offset:3512 ; 16-byte Folded Spill
	s_nop 0
	scratch_store_dwordx4 off, v[100:103], off offset:3528 ; 16-byte Folded Spill
	scratch_store_dwordx4 off, v[104:107], off offset:3544 ; 16-byte Folded Spill
	scratch_store_dwordx4 off, v[108:111], off offset:3560 ; 16-byte Folded Spill
	scratch_store_dwordx4 off, v[96:99], off offset:1408
	;; [unrolled: 9-line block ×5, first 2 shown]
	scratch_store_dwordx4 off, v[124:127], off offset:1712
	scratch_store_dwordx4 off, v[120:123], off offset:1696
	;; [unrolled: 1-line block ×7, first 2 shown]
	scratch_store_dwordx4 off, v[16:19], off offset:3640 ; 16-byte Folded Spill
	s_nop 0
	scratch_store_dwordx4 off, v[20:23], off offset:3656 ; 16-byte Folded Spill
	scratch_store_dwordx4 off, v[24:27], off offset:3672 ; 16-byte Folded Spill
	;; [unrolled: 1-line block ×3, first 2 shown]
	scratch_store_dwordx4 off, v[16:19], off offset:1728
.LBB63_11:                              ;   in Loop: Header=BB63_12 Depth=2
	s_or_b64 exec, exec, s[2:3]
	scratch_load_dwordx2 v[0:1], off, off offset:1904 ; 8-byte Folded Reload
	s_addk_i32 s44, 0x400
	s_cmp_ge_u32 s44, s20
	s_waitcnt vmcnt(0)
	v_add_u32_e32 v0, 0x400, v0
	scratch_store_dwordx2 off, v[0:1], off offset:1904 ; 8-byte Folded Spill
	s_cbranch_scc1 .LBB63_31
.LBB63_12:                              ;   Parent Loop BB63_8 Depth=1
                                        ; =>  This Loop Header: Depth=2
                                        ;       Child Loop BB63_14 Depth 3
	scratch_load_dwordx2 v[16:17], off, off offset:3704 ; 8-byte Folded Reload
	s_waitcnt vmcnt(0)
	v_add_u32_e32 v18, s44, v16
	v_cmp_gt_u32_e32 vcc, s20, v18
	s_and_saveexec_b64 s[2:3], vcc
	s_cbranch_execz .LBB63_11
; %bb.13:                               ;   in Loop: Header=BB63_12 Depth=2
	scratch_store_dwordx4 off, v[112:115], off offset:3712 ; 16-byte Folded Spill
	s_nop 0
	scratch_store_dwordx4 off, v[116:119], off offset:3728 ; 16-byte Folded Spill
	scratch_store_dwordx4 off, v[120:123], off offset:3744 ; 16-byte Folded Spill
	scratch_store_dwordx4 off, v[124:127], off offset:3760 ; 16-byte Folded Spill
	scratch_load_dwordx2 v[0:1], off, off offset:1904 ; 8-byte Folded Reload
	v_mov_b32_e32 v19, 0x700
	s_mov_b32 s5, 0
	s_mov_b64 s[6:7], 0
	s_waitcnt vmcnt(0) lgkmcnt(0)
	v_lshl_add_u64 v[16:17], s[26:27], 0, v[0:1]
	scratch_load_dwordx2 v[0:1], off, off offset:3840 ; 8-byte Folded Reload
.LBB63_14:                              ;   Parent Loop BB63_8 Depth=1
                                        ;     Parent Loop BB63_12 Depth=2
                                        ; =>    This Inner Loop Header: Depth=3
	global_load_dwordx4 v[20:23], v[16:17], off nt
	s_add_i32 s10, s5, 1
	s_cmp_gt_u32 s5, 5
	s_cselect_b64 s[8:9], -1, 0
	v_lshl_add_u64 v[16:17], v[16:17], 0, s[34:35]
	s_mov_b32 s5, s10
	s_waitcnt vmcnt(0)
	scratch_store_dwordx4 v19, v[20:23], off
	s_nop 1
	v_add_u32_e32 v20, s10, v0
	v_cmp_le_u32_e32 vcc, s22, v20
	s_or_b64 s[8:9], s[8:9], vcc
	s_and_b64 s[8:9], exec, s[8:9]
	v_add_u32_e32 v19, 16, v19
	s_or_b64 s[6:7], s[8:9], s[6:7]
	s_andn2_b64 exec, exec, s[6:7]
	s_cbranch_execnz .LBB63_14
; %bb.15:                               ;   in Loop: Header=BB63_12 Depth=2
	s_or_b64 exec, exec, s[6:7]
	v_cmp_lt_u32_e32 vcc, s21, v18
                                        ; implicit-def: $vgpr48_vgpr49
	s_and_saveexec_b64 s[6:7], vcc
	s_xor_b64 s[6:7], exec, s[6:7]
	s_cbranch_execz .LBB63_17
; %bb.16:                               ;   in Loop: Header=BB63_12 Depth=2
	global_load_dwordx4 v[48:51], v18, s[24:25]
.LBB63_17:                              ;   in Loop: Header=BB63_12 Depth=2
	s_andn2_saveexec_b64 s[6:7], s[6:7]
	s_cbranch_execz .LBB63_19
; %bb.18:                               ;   in Loop: Header=BB63_12 Depth=2
	s_waitcnt vmcnt(0)
	ds_read_b128 v[48:51], v18
.LBB63_19:                              ;   in Loop: Header=BB63_12 Depth=2
	s_or_b64 exec, exec, s[6:7]
	v_add_u32_e32 v16, s20, v18
	v_cmp_lt_u32_e32 vcc, s21, v16
                                        ; implicit-def: $vgpr0_vgpr1
	scratch_store_dwordx4 off, v[0:3], off offset:3288 ; 16-byte Folded Spill
	s_and_saveexec_b64 s[6:7], vcc
	s_xor_b64 s[6:7], exec, s[6:7]
	s_cbranch_execz .LBB63_21
; %bb.20:                               ;   in Loop: Header=BB63_12 Depth=2
	global_load_dwordx4 v[0:3], v16, s[24:25]
	s_waitcnt vmcnt(0)
	scratch_store_dwordx4 off, v[0:3], off offset:3288 ; 16-byte Folded Spill
.LBB63_21:                              ;   in Loop: Header=BB63_12 Depth=2
	s_andn2_saveexec_b64 s[6:7], s[6:7]
	s_cbranch_execz .LBB63_23
; %bb.22:                               ;   in Loop: Header=BB63_12 Depth=2
	ds_read_b128 v[0:3], v16
	s_waitcnt lgkmcnt(0)
	scratch_store_dwordx4 off, v[0:3], off offset:3288 ; 16-byte Folded Spill
.LBB63_23:                              ;   in Loop: Header=BB63_12 Depth=2
	s_or_b64 exec, exec, s[6:7]
	v_add_u32_e32 v16, s20, v16
	v_cmp_lt_u32_e32 vcc, s21, v16
                                        ; implicit-def: $vgpr0_vgpr1
	scratch_store_dwordx4 off, v[0:3], off offset:3272 ; 16-byte Folded Spill
	s_and_saveexec_b64 s[6:7], vcc
	s_xor_b64 s[6:7], exec, s[6:7]
	s_cbranch_execz .LBB63_25
; %bb.24:                               ;   in Loop: Header=BB63_12 Depth=2
	global_load_dwordx4 v[0:3], v16, s[24:25]
	s_waitcnt vmcnt(0)
	scratch_store_dwordx4 off, v[0:3], off offset:3272 ; 16-byte Folded Spill
.LBB63_25:                              ;   in Loop: Header=BB63_12 Depth=2
	s_andn2_saveexec_b64 s[6:7], s[6:7]
	s_cbranch_execz .LBB63_27
; %bb.26:                               ;   in Loop: Header=BB63_12 Depth=2
	ds_read_b128 v[0:3], v16
	s_waitcnt lgkmcnt(0)
	scratch_store_dwordx4 off, v[0:3], off offset:3272 ; 16-byte Folded Spill
.LBB63_27:                              ;   in Loop: Header=BB63_12 Depth=2
	s_or_b64 exec, exec, s[6:7]
	v_add_u32_e32 v16, s20, v16
	v_cmp_lt_u32_e32 vcc, s21, v16
                                        ; implicit-def: $vgpr0_vgpr1
	scratch_store_dwordx4 off, v[0:3], off offset:3256 ; 16-byte Folded Spill
	s_and_saveexec_b64 s[6:7], vcc
	s_xor_b64 s[6:7], exec, s[6:7]
	s_cbranch_execz .LBB63_29
; %bb.28:                               ;   in Loop: Header=BB63_12 Depth=2
	global_load_dwordx4 v[0:3], v16, s[24:25]
                                        ; implicit-def: $vgpr16
	s_waitcnt vmcnt(0)
	scratch_store_dwordx4 off, v[0:3], off offset:3256 ; 16-byte Folded Spill
.LBB63_29:                              ;   in Loop: Header=BB63_12 Depth=2
	s_andn2_saveexec_b64 s[6:7], s[6:7]
	s_cbranch_execz .LBB63_10
; %bb.30:                               ;   in Loop: Header=BB63_12 Depth=2
	ds_read_b128 v[0:3], v16
	s_waitcnt lgkmcnt(0)
	scratch_store_dwordx4 off, v[0:3], off offset:3256 ; 16-byte Folded Spill
	s_branch .LBB63_10
.LBB63_31:                              ;   in Loop: Header=BB63_8 Depth=1
	scratch_load_dword v20, off, off offset:3872 ; 4-byte Folded Reload
	s_mov_b32 s2, 0
.LBB63_32:                              ;   Parent Loop BB63_8 Depth=1
                                        ; =>  This Inner Loop Header: Depth=2
	s_add_i32 s3, s2, 0
	scratch_load_dwordx4 v[0:3], off, s3 offset:48
	scratch_load_dwordx4 v[4:7], off, s3 offset:32
	scratch_load_dwordx4 v[8:11], off, s3
	scratch_load_dwordx4 v[12:15], off, s3 offset:16
	s_add_i32 s2, s2, 64
	s_cmpk_lg_i32 s2, 0x1c0
	s_waitcnt vmcnt(2)
	;;#ASMSTART
	v_add_f32 v4, v5, v4 row_shl:1 bound_ctrl:0 
	;;#ASMEND
	s_nop 0
	;;#ASMSTART
	v_add_f32 v4, v6, v4 row_shl:2 bound_ctrl:0 
	;;#ASMEND
	s_waitcnt vmcnt(1)
	;;#ASMSTART
	v_add_f32 v8, v9, v8 row_shl:1 bound_ctrl:0 
	;;#ASMEND
	;;#ASMSTART
	v_add_f32 v4, v7, v4 row_shl:3 bound_ctrl:0 
	;;#ASMEND
	s_nop 0
	;;#ASMSTART
	v_add_f32 v8, v10, v8 row_shl:2 bound_ctrl:0 
	;;#ASMEND
	;;#ASMSTART
	v_add_f32 v4, v0, v4 row_shl:8 bound_ctrl:0 
	;;#ASMEND
	s_nop 0
	;;#ASMSTART
	v_add_f32 v8, v11, v8 row_shl:3 bound_ctrl:0 
	;;#ASMEND
	;;#ASMSTART
	v_add_f32 v4, v1, v4 row_shl:9 bound_ctrl:0 
	;;#ASMEND
	s_waitcnt vmcnt(0)
	;;#ASMSTART
	v_add_f32 v8, v12, v8 row_shl:8 bound_ctrl:0 
	;;#ASMEND
	;;#ASMSTART
	v_add_f32 v4, v2, v4 row_shl:10 bound_ctrl:0 
	;;#ASMEND
	s_nop 0
	;;#ASMSTART
	v_add_f32 v8, v13, v8 row_shl:9 bound_ctrl:0 
	;;#ASMEND
	;;#ASMSTART
	v_add_f32 v4, v3, v4 row_shl:11 bound_ctrl:0 
	;;#ASMEND
	ds_bpermute_b32 v0, v20, v4 offset:208
	;;#ASMSTART
	v_add_f32 v8, v14, v8 row_shl:10 bound_ctrl:0 
	;;#ASMEND
	s_waitcnt lgkmcnt(0)
	v_add_f32_e32 v0, v4, v0
	;;#ASMSTART
	v_add_f32 v8, v15, v8 row_shl:11 bound_ctrl:0 
	;;#ASMEND
	ds_bpermute_b32 v1, v20, v8 offset:144
	ds_bpermute_b32 v0, v20, v0 offset:64
	s_waitcnt lgkmcnt(1)
	v_add_f32_e32 v1, v8, v1
	s_waitcnt lgkmcnt(0)
	v_add_f32_e32 v0, v1, v0
	scratch_store_dword off, v0, s3
	s_cbranch_scc1 .LBB63_32
; %bb.33:                               ;   in Loop: Header=BB63_8 Depth=1
	v_or_b32_e32 v0, 0x90, v20
	v_or_b32_e32 v1, 0xd0, v20
	v_or_b32_e32 v2, 64, v20
	s_movk_i32 s2, 0x1c0
.LBB63_34:                              ;   Parent Loop BB63_8 Depth=1
                                        ; =>  This Inner Loop Header: Depth=2
	s_add_i32 s3, s2, 0
	scratch_load_dwordx4 v[4:7], off, s3 offset:48
	scratch_load_dwordx4 v[8:11], off, s3 offset:32
	scratch_load_dwordx4 v[12:15], off, s3
	scratch_load_dwordx4 v[16:19], off, s3 offset:16
	s_add_i32 s2, s2, 64
	s_cmpk_lg_i32 s2, 0x380
	s_waitcnt vmcnt(2)
	;;#ASMSTART
	v_add_f32 v8, v9, v8 row_shl:1 bound_ctrl:0 
	;;#ASMEND
	s_nop 0
	;;#ASMSTART
	v_add_f32 v8, v10, v8 row_shl:2 bound_ctrl:0 
	;;#ASMEND
	s_waitcnt vmcnt(1)
	;;#ASMSTART
	v_add_f32 v12, v13, v12 row_shl:1 bound_ctrl:0 
	;;#ASMEND
	;;#ASMSTART
	v_add_f32 v8, v11, v8 row_shl:3 bound_ctrl:0 
	;;#ASMEND
	s_nop 0
	;;#ASMSTART
	v_add_f32 v12, v14, v12 row_shl:2 bound_ctrl:0 
	;;#ASMEND
	;;#ASMSTART
	v_add_f32 v8, v4, v8 row_shl:8 bound_ctrl:0 
	;;#ASMEND
	s_nop 0
	;;#ASMSTART
	v_add_f32 v12, v15, v12 row_shl:3 bound_ctrl:0 
	;;#ASMEND
	;;#ASMSTART
	v_add_f32 v8, v5, v8 row_shl:9 bound_ctrl:0 
	;;#ASMEND
	s_waitcnt vmcnt(0)
	;;#ASMSTART
	v_add_f32 v12, v16, v12 row_shl:8 bound_ctrl:0 
	;;#ASMEND
	;;#ASMSTART
	v_add_f32 v8, v6, v8 row_shl:10 bound_ctrl:0 
	;;#ASMEND
	s_nop 0
	;;#ASMSTART
	v_add_f32 v12, v17, v12 row_shl:9 bound_ctrl:0 
	;;#ASMEND
	;;#ASMSTART
	v_add_f32 v8, v7, v8 row_shl:11 bound_ctrl:0 
	;;#ASMEND
	ds_bpermute_b32 v3, v1, v8
	;;#ASMSTART
	v_add_f32 v12, v18, v12 row_shl:10 bound_ctrl:0 
	;;#ASMEND
	s_waitcnt lgkmcnt(0)
	v_add_f32_e32 v3, v8, v3
	;;#ASMSTART
	v_add_f32 v12, v19, v12 row_shl:11 bound_ctrl:0 
	;;#ASMEND
	ds_bpermute_b32 v4, v0, v12
	ds_bpermute_b32 v3, v2, v3
	s_waitcnt lgkmcnt(1)
	v_add_f32_e32 v4, v12, v4
	s_waitcnt lgkmcnt(0)
	v_add_f32_e32 v3, v4, v3
	scratch_store_dword off, v3, s3
	s_cbranch_scc1 .LBB63_34
; %bb.35:                               ;   in Loop: Header=BB63_8 Depth=1
	s_movk_i32 s2, 0x380
.LBB63_36:                              ;   Parent Loop BB63_8 Depth=1
                                        ; =>  This Inner Loop Header: Depth=2
	s_add_i32 s3, s2, 0
	scratch_load_dwordx4 v[4:7], off, s3 offset:48
	scratch_load_dwordx4 v[8:11], off, s3 offset:32
	scratch_load_dwordx4 v[12:15], off, s3
	scratch_load_dwordx4 v[16:19], off, s3 offset:16
	s_add_i32 s2, s2, 64
	s_cmpk_lg_i32 s2, 0x540
	s_waitcnt vmcnt(2)
	;;#ASMSTART
	v_add_f32 v8, v9, v8 row_shl:1 bound_ctrl:0 
	;;#ASMEND
	s_nop 0
	;;#ASMSTART
	v_add_f32 v8, v10, v8 row_shl:2 bound_ctrl:0 
	;;#ASMEND
	s_waitcnt vmcnt(1)
	;;#ASMSTART
	v_add_f32 v12, v13, v12 row_shl:1 bound_ctrl:0 
	;;#ASMEND
	;;#ASMSTART
	v_add_f32 v8, v11, v8 row_shl:3 bound_ctrl:0 
	;;#ASMEND
	s_nop 0
	;;#ASMSTART
	v_add_f32 v12, v14, v12 row_shl:2 bound_ctrl:0 
	;;#ASMEND
	;;#ASMSTART
	v_add_f32 v8, v4, v8 row_shl:8 bound_ctrl:0 
	;;#ASMEND
	s_nop 0
	;;#ASMSTART
	v_add_f32 v12, v15, v12 row_shl:3 bound_ctrl:0 
	;;#ASMEND
	;;#ASMSTART
	v_add_f32 v8, v5, v8 row_shl:9 bound_ctrl:0 
	;;#ASMEND
	s_waitcnt vmcnt(0)
	;;#ASMSTART
	v_add_f32 v12, v16, v12 row_shl:8 bound_ctrl:0 
	;;#ASMEND
	;;#ASMSTART
	v_add_f32 v8, v6, v8 row_shl:10 bound_ctrl:0 
	;;#ASMEND
	s_nop 0
	;;#ASMSTART
	v_add_f32 v12, v17, v12 row_shl:9 bound_ctrl:0 
	;;#ASMEND
	;;#ASMSTART
	v_add_f32 v8, v7, v8 row_shl:11 bound_ctrl:0 
	;;#ASMEND
	ds_bpermute_b32 v3, v1, v8
	;;#ASMSTART
	v_add_f32 v12, v18, v12 row_shl:10 bound_ctrl:0 
	;;#ASMEND
	s_waitcnt lgkmcnt(0)
	v_add_f32_e32 v3, v8, v3
	;;#ASMSTART
	v_add_f32 v12, v19, v12 row_shl:11 bound_ctrl:0 
	;;#ASMEND
	ds_bpermute_b32 v4, v0, v12
	ds_bpermute_b32 v3, v2, v3
	s_waitcnt lgkmcnt(1)
	v_add_f32_e32 v4, v12, v4
	s_waitcnt lgkmcnt(0)
	v_add_f32_e32 v3, v4, v3
	scratch_store_dword off, v3, s3
	s_cbranch_scc1 .LBB63_36
; %bb.37:                               ;   in Loop: Header=BB63_8 Depth=1
	s_movk_i32 s2, 0x540
.LBB63_38:                              ;   Parent Loop BB63_8 Depth=1
                                        ; =>  This Inner Loop Header: Depth=2
	s_add_i32 s3, s2, 0
	scratch_load_dwordx4 v[4:7], off, s3 offset:48
	scratch_load_dwordx4 v[8:11], off, s3 offset:32
	scratch_load_dwordx4 v[12:15], off, s3
	scratch_load_dwordx4 v[16:19], off, s3 offset:16
	s_add_i32 s2, s2, 64
	s_cmpk_lg_i32 s2, 0x700
	s_waitcnt vmcnt(2)
	;;#ASMSTART
	v_add_f32 v8, v9, v8 row_shl:1 bound_ctrl:0 
	;;#ASMEND
	s_nop 0
	;;#ASMSTART
	v_add_f32 v8, v10, v8 row_shl:2 bound_ctrl:0 
	;;#ASMEND
	s_waitcnt vmcnt(1)
	;;#ASMSTART
	v_add_f32 v12, v13, v12 row_shl:1 bound_ctrl:0 
	;;#ASMEND
	;;#ASMSTART
	v_add_f32 v8, v11, v8 row_shl:3 bound_ctrl:0 
	;;#ASMEND
	s_nop 0
	;;#ASMSTART
	v_add_f32 v12, v14, v12 row_shl:2 bound_ctrl:0 
	;;#ASMEND
	;;#ASMSTART
	v_add_f32 v8, v4, v8 row_shl:8 bound_ctrl:0 
	;;#ASMEND
	s_nop 0
	;;#ASMSTART
	v_add_f32 v12, v15, v12 row_shl:3 bound_ctrl:0 
	;;#ASMEND
	;;#ASMSTART
	v_add_f32 v8, v5, v8 row_shl:9 bound_ctrl:0 
	;;#ASMEND
	s_waitcnt vmcnt(0)
	;;#ASMSTART
	v_add_f32 v12, v16, v12 row_shl:8 bound_ctrl:0 
	;;#ASMEND
	;;#ASMSTART
	v_add_f32 v8, v6, v8 row_shl:10 bound_ctrl:0 
	;;#ASMEND
	s_nop 0
	;;#ASMSTART
	v_add_f32 v12, v17, v12 row_shl:9 bound_ctrl:0 
	;;#ASMEND
	;;#ASMSTART
	v_add_f32 v8, v7, v8 row_shl:11 bound_ctrl:0 
	;;#ASMEND
	ds_bpermute_b32 v3, v1, v8
	;;#ASMSTART
	v_add_f32 v12, v18, v12 row_shl:10 bound_ctrl:0 
	;;#ASMEND
	s_waitcnt lgkmcnt(0)
	v_add_f32_e32 v3, v8, v3
	;;#ASMSTART
	v_add_f32 v12, v19, v12 row_shl:11 bound_ctrl:0 
	;;#ASMEND
	ds_bpermute_b32 v4, v0, v12
	ds_bpermute_b32 v3, v2, v3
	s_waitcnt lgkmcnt(1)
	v_add_f32_e32 v4, v12, v4
	s_waitcnt lgkmcnt(0)
	v_add_f32_e32 v3, v4, v3
	scratch_store_dword off, v3, s3
	s_cbranch_scc1 .LBB63_38
; %bb.39:                               ;   in Loop: Header=BB63_8 Depth=1
	s_mov_b64 s[6:7], exec
	scratch_load_dwordx2 v[8:9], off, off offset:3840 ; 8-byte Folded Reload
	s_and_b64 s[2:3], s[6:7], s[0:1]
	s_mov_b64 exec, s[2:3]
	s_cbranch_execz .LBB63_7
; %bb.40:                               ;   in Loop: Header=BB63_8 Depth=1
	scratch_load_dwordx4 v[0:3], off, off
                                        ; implicit-def: $vgpr2
	s_waitcnt vmcnt(0)
	v_mul_f32_e32 v0, s23, v0
	v_mul_f32_e32 v0, s33, v0
	v_and_b32_e32 v1, 0x7f800000, v0
	v_cmp_ne_u32_e32 vcc, s42, v1
	s_and_saveexec_b64 s[2:3], vcc
	s_xor_b64 s[2:3], exec, s[2:3]
; %bb.41:                               ;   in Loop: Header=BB63_8 Depth=1
	v_bfe_u32 v1, v0, 16, 1
	v_add3_u32 v2, v0, v1, s43
                                        ; implicit-def: $vgpr0
; %bb.42:                               ;   in Loop: Header=BB63_8 Depth=1
	s_andn2_saveexec_b64 s[2:3], s[2:3]
	s_cbranch_execz .LBB63_44
; %bb.43:                               ;   in Loop: Header=BB63_8 Depth=1
	scratch_load_dwordx2 v[2:3], off, off offset:1904 ; 8-byte Folded Reload
	v_or_b32_e32 v1, 0x10000, v0
	s_waitcnt vmcnt(0)
	v_cmp_eq_u32_sdwa vcc, v0, v3 src0_sel:WORD_0 src1_sel:DWORD
	s_nop 1
	v_cndmask_b32_e32 v2, v1, v0, vcc
.LBB63_44:                              ;   in Loop: Header=BB63_8 Depth=1
	s_or_b64 exec, exec, s[2:3]
	scratch_load_dwordx2 v[0:1], off, off offset:1904 ; 8-byte Folded Reload
	s_waitcnt vmcnt(0)
	v_mov_b32_e32 v9, v1
	v_lshl_add_u64 v[0:1], v[8:9], 1, s[28:29]
	global_store_short_d16_hi v[0:1], v2, off
	v_add_u32_e32 v2, 1, v8
	v_cmp_gt_u32_e32 vcc, s22, v2
	s_and_saveexec_b64 s[8:9], vcc
	s_cbranch_execz .LBB63_75
; %bb.45:                               ;   in Loop: Header=BB63_8 Depth=1
	scratch_load_dwordx4 v[4:7], off, off offset:64
	s_waitcnt vmcnt(0)
	v_mul_f32_e32 v3, s23, v4
	v_mul_f32_e32 v3, s33, v3
	v_and_b32_e32 v4, 0x7f800000, v3
	v_cmp_ne_u32_e64 s[2:3], s42, v4
                                        ; implicit-def: $vgpr4
	s_and_saveexec_b64 s[10:11], s[2:3]
	s_xor_b64 s[2:3], exec, s[10:11]
; %bb.46:                               ;   in Loop: Header=BB63_8 Depth=1
	v_bfe_u32 v4, v3, 16, 1
	v_add3_u32 v4, v3, v4, s43
                                        ; implicit-def: $vgpr3
; %bb.47:                               ;   in Loop: Header=BB63_8 Depth=1
	s_andn2_saveexec_b64 s[10:11], s[2:3]
	s_cbranch_execz .LBB63_49
; %bb.48:                               ;   in Loop: Header=BB63_8 Depth=1
	scratch_load_dwordx2 v[6:7], off, off offset:1904 ; 8-byte Folded Reload
	v_or_b32_e32 v4, 0x10000, v3
	s_waitcnt vmcnt(0)
	v_cmp_eq_u32_sdwa s[2:3], v3, v7 src0_sel:WORD_0 src1_sel:DWORD
	s_nop 1
	v_cndmask_b32_e64 v4, v4, v3, s[2:3]
.LBB63_49:                              ;   in Loop: Header=BB63_8 Depth=1
	s_or_b64 exec, exec, s[10:11]
	v_add_u32_e32 v3, 2, v8
	v_cmp_gt_u32_e64 s[2:3], s22, v3
	global_store_short_d16_hi v[0:1], v4, off offset:2
	s_and_b64 exec, exec, s[2:3]
	s_cbranch_execz .LBB63_75
; %bb.50:                               ;   in Loop: Header=BB63_8 Depth=1
	scratch_load_dwordx4 v[4:7], off, off offset:128
	s_waitcnt vmcnt(0)
	v_mul_f32_e32 v3, s23, v4
	v_mul_f32_e32 v3, s33, v3
	v_and_b32_e32 v4, 0x7f800000, v3
	v_cmp_ne_u32_e64 s[2:3], s42, v4
                                        ; implicit-def: $vgpr4
	s_and_saveexec_b64 s[10:11], s[2:3]
	s_xor_b64 s[2:3], exec, s[10:11]
; %bb.51:                               ;   in Loop: Header=BB63_8 Depth=1
	v_bfe_u32 v4, v3, 16, 1
	v_add3_u32 v4, v3, v4, s43
                                        ; implicit-def: $vgpr3
; %bb.52:                               ;   in Loop: Header=BB63_8 Depth=1
	s_andn2_saveexec_b64 s[10:11], s[2:3]
	s_cbranch_execz .LBB63_54
; %bb.53:                               ;   in Loop: Header=BB63_8 Depth=1
	scratch_load_dwordx2 v[6:7], off, off offset:1904 ; 8-byte Folded Reload
	v_or_b32_e32 v4, 0x10000, v3
	s_waitcnt vmcnt(0)
	v_cmp_eq_u32_sdwa s[2:3], v3, v7 src0_sel:WORD_0 src1_sel:DWORD
	s_nop 1
	v_cndmask_b32_e64 v4, v4, v3, s[2:3]
.LBB63_54:                              ;   in Loop: Header=BB63_8 Depth=1
	s_or_b64 exec, exec, s[10:11]
	v_add_u32_e32 v3, 3, v8
	v_cmp_gt_u32_e64 s[2:3], s22, v3
	global_store_short_d16_hi v[0:1], v4, off offset:4
	s_and_b64 exec, exec, s[2:3]
	;; [unrolled: 31-line block ×5, first 2 shown]
	s_cbranch_execz .LBB63_75
; %bb.70:                               ;   in Loop: Header=BB63_8 Depth=1
	scratch_load_dwordx4 v[4:7], off, off offset:384
	s_waitcnt vmcnt(0)
	v_mul_f32_e32 v3, s23, v4
	v_mul_f32_e32 v3, s33, v3
	v_and_b32_e32 v4, 0x7f800000, v3
	v_cmp_ne_u32_e64 s[2:3], s42, v4
                                        ; implicit-def: $vgpr4
	s_and_saveexec_b64 s[10:11], s[2:3]
	s_xor_b64 s[2:3], exec, s[10:11]
; %bb.71:                               ;   in Loop: Header=BB63_8 Depth=1
	v_bfe_u32 v4, v3, 16, 1
	v_add3_u32 v4, v3, v4, s43
                                        ; implicit-def: $vgpr3
; %bb.72:                               ;   in Loop: Header=BB63_8 Depth=1
	s_andn2_saveexec_b64 s[10:11], s[2:3]
	s_cbranch_execz .LBB63_74
; %bb.73:                               ;   in Loop: Header=BB63_8 Depth=1
	scratch_load_dwordx2 v[6:7], off, off offset:1904 ; 8-byte Folded Reload
	v_or_b32_e32 v4, 0x10000, v3
	s_waitcnt vmcnt(0)
	v_cmp_eq_u32_sdwa s[2:3], v3, v7 src0_sel:WORD_0 src1_sel:DWORD
	s_nop 1
	v_cndmask_b32_e64 v4, v4, v3, s[2:3]
.LBB63_74:                              ;   in Loop: Header=BB63_8 Depth=1
	s_or_b64 exec, exec, s[10:11]
	global_store_short_d16_hi v[0:1], v4, off offset:12
.LBB63_75:                              ;   in Loop: Header=BB63_8 Depth=1
	s_or_b64 exec, exec, s[8:9]
	scratch_load_dwordx4 v[4:7], off, off offset:448
	s_waitcnt vmcnt(0)
	v_mul_f32_e32 v0, s23, v4
	v_mul_f32_e32 v1, s33, v0
	v_and_b32_e32 v0, 0x7f800000, v1
	v_cmp_ne_u32_e64 s[2:3], s42, v0
                                        ; implicit-def: $vgpr0
	s_and_saveexec_b64 s[8:9], s[2:3]
	s_xor_b64 s[2:3], exec, s[8:9]
; %bb.76:                               ;   in Loop: Header=BB63_8 Depth=1
	v_bfe_u32 v0, v1, 16, 1
	v_add3_u32 v0, v1, v0, s43
                                        ; implicit-def: $vgpr1
; %bb.77:                               ;   in Loop: Header=BB63_8 Depth=1
	s_andn2_saveexec_b64 s[8:9], s[2:3]
	s_cbranch_execz .LBB63_79
; %bb.78:                               ;   in Loop: Header=BB63_8 Depth=1
	scratch_load_dwordx2 v[4:5], off, off offset:1904 ; 8-byte Folded Reload
	v_or_b32_e32 v0, 0x10000, v1
	s_waitcnt vmcnt(0)
	v_cmp_eq_u32_sdwa s[2:3], v1, v5 src0_sel:WORD_0 src1_sel:DWORD
	s_nop 1
	v_cndmask_b32_e64 v0, v0, v1, s[2:3]
.LBB63_79:                              ;   in Loop: Header=BB63_8 Depth=1
	s_or_b64 exec, exec, s[8:9]
	scratch_load_dwordx2 v[4:5], off, off offset:1904 ; 8-byte Folded Reload
	s_waitcnt vmcnt(0)
	v_add_u32_e32 v4, s22, v8
	v_mov_b32_e32 v9, v5
	v_lshl_add_u64 v[4:5], v[4:5], 1, s[28:29]
	global_store_short_d16_hi v[4:5], v0, off
	s_and_saveexec_b64 s[8:9], vcc
	s_cbranch_execz .LBB63_110
; %bb.80:                               ;   in Loop: Header=BB63_8 Depth=1
	scratch_load_dwordx4 v[4:7], off, off offset:512
	s_waitcnt vmcnt(0)
	v_mul_f32_e32 v0, s23, v4
	v_mul_f32_e32 v1, s33, v0
	v_and_b32_e32 v0, 0x7f800000, v1
	v_cmp_ne_u32_e64 s[2:3], s42, v0
                                        ; implicit-def: $vgpr0
	s_and_saveexec_b64 s[10:11], s[2:3]
	s_xor_b64 s[2:3], exec, s[10:11]
; %bb.81:                               ;   in Loop: Header=BB63_8 Depth=1
	v_bfe_u32 v0, v1, 16, 1
	v_add3_u32 v0, v1, v0, s43
                                        ; implicit-def: $vgpr1
; %bb.82:                               ;   in Loop: Header=BB63_8 Depth=1
	s_andn2_saveexec_b64 s[10:11], s[2:3]
; %bb.83:                               ;   in Loop: Header=BB63_8 Depth=1
	v_or_b32_e32 v0, 0x10000, v1
	v_cmp_eq_u32_sdwa s[2:3], v1, v9 src0_sel:WORD_0 src1_sel:DWORD
	s_nop 1
	v_cndmask_b32_e64 v0, v0, v1, s[2:3]
; %bb.84:                               ;   in Loop: Header=BB63_8 Depth=1
	s_or_b64 exec, exec, s[10:11]
	v_mov_b32_e32 v5, v9
	v_add_u32_e32 v4, s22, v2
	v_lshl_add_u64 v[4:5], v[4:5], 1, s[28:29]
	global_store_short_d16_hi v[4:5], v0, off
	v_add_u32_e32 v0, 2, v8
	v_cmp_gt_u32_e64 s[2:3], s22, v0
	s_and_b64 exec, exec, s[2:3]
	s_cbranch_execz .LBB63_110
; %bb.85:                               ;   in Loop: Header=BB63_8 Depth=1
	scratch_load_dwordx4 v[4:7], off, off offset:576
	s_waitcnt vmcnt(0)
	v_mul_f32_e32 v1, s23, v4
	v_mul_f32_e32 v3, s33, v1
	v_and_b32_e32 v1, 0x7f800000, v3
	v_cmp_ne_u32_e64 s[2:3], s42, v1
                                        ; implicit-def: $vgpr1
	s_and_saveexec_b64 s[10:11], s[2:3]
	s_xor_b64 s[2:3], exec, s[10:11]
; %bb.86:                               ;   in Loop: Header=BB63_8 Depth=1
	v_bfe_u32 v1, v3, 16, 1
	v_add3_u32 v1, v3, v1, s43
                                        ; implicit-def: $vgpr3
; %bb.87:                               ;   in Loop: Header=BB63_8 Depth=1
	s_andn2_saveexec_b64 s[10:11], s[2:3]
; %bb.88:                               ;   in Loop: Header=BB63_8 Depth=1
	v_or_b32_e32 v1, 0x10000, v3
	v_cmp_eq_u32_sdwa s[2:3], v3, v9 src0_sel:WORD_0 src1_sel:DWORD
	s_nop 1
	v_cndmask_b32_e64 v1, v1, v3, s[2:3]
; %bb.89:                               ;   in Loop: Header=BB63_8 Depth=1
	s_or_b64 exec, exec, s[10:11]
	v_mov_b32_e32 v5, v9
	v_add_u32_e32 v4, s22, v0
	v_add_u32_e32 v0, 3, v8
	v_lshl_add_u64 v[4:5], v[4:5], 1, s[28:29]
	v_cmp_gt_u32_e64 s[2:3], s22, v0
	global_store_short_d16_hi v[4:5], v1, off
	s_and_b64 exec, exec, s[2:3]
	s_cbranch_execz .LBB63_110
; %bb.90:                               ;   in Loop: Header=BB63_8 Depth=1
	scratch_load_dwordx4 v[4:7], off, off offset:640
	s_waitcnt vmcnt(0)
	v_mul_f32_e32 v1, s23, v4
	v_mul_f32_e32 v3, s33, v1
	v_and_b32_e32 v1, 0x7f800000, v3
	v_cmp_ne_u32_e64 s[2:3], s42, v1
                                        ; implicit-def: $vgpr1
	s_and_saveexec_b64 s[10:11], s[2:3]
	s_xor_b64 s[2:3], exec, s[10:11]
; %bb.91:                               ;   in Loop: Header=BB63_8 Depth=1
	v_bfe_u32 v1, v3, 16, 1
	v_add3_u32 v1, v3, v1, s43
                                        ; implicit-def: $vgpr3
; %bb.92:                               ;   in Loop: Header=BB63_8 Depth=1
	s_andn2_saveexec_b64 s[10:11], s[2:3]
; %bb.93:                               ;   in Loop: Header=BB63_8 Depth=1
	v_or_b32_e32 v1, 0x10000, v3
	v_cmp_eq_u32_sdwa s[2:3], v3, v9 src0_sel:WORD_0 src1_sel:DWORD
	s_nop 1
	v_cndmask_b32_e64 v1, v1, v3, s[2:3]
; %bb.94:                               ;   in Loop: Header=BB63_8 Depth=1
	s_or_b64 exec, exec, s[10:11]
	v_mov_b32_e32 v5, v9
	v_add_u32_e32 v4, s22, v0
	v_add_u32_e32 v0, 4, v8
	v_lshl_add_u64 v[4:5], v[4:5], 1, s[28:29]
	v_cmp_gt_u32_e64 s[2:3], s22, v0
	global_store_short_d16_hi v[4:5], v1, off
	;; [unrolled: 31-line block ×3, first 2 shown]
	s_and_b64 exec, exec, s[2:3]
	s_cbranch_execz .LBB63_110
; %bb.100:                              ;   in Loop: Header=BB63_8 Depth=1
	scratch_load_dwordx4 v[4:7], off, off offset:768
	s_waitcnt vmcnt(0)
	v_mul_f32_e32 v1, s23, v4
	v_mul_f32_e32 v3, s33, v1
	v_and_b32_e32 v1, 0x7f800000, v3
	v_cmp_ne_u32_e64 s[2:3], s42, v1
                                        ; implicit-def: $vgpr1
	s_and_saveexec_b64 s[10:11], s[2:3]
	s_xor_b64 s[2:3], exec, s[10:11]
; %bb.101:                              ;   in Loop: Header=BB63_8 Depth=1
	v_bfe_u32 v1, v3, 16, 1
	v_add3_u32 v1, v3, v1, s43
                                        ; implicit-def: $vgpr3
; %bb.102:                              ;   in Loop: Header=BB63_8 Depth=1
	s_andn2_saveexec_b64 s[10:11], s[2:3]
; %bb.103:                              ;   in Loop: Header=BB63_8 Depth=1
	v_or_b32_e32 v1, 0x10000, v3
	v_cmp_eq_u32_sdwa s[2:3], v3, v9 src0_sel:WORD_0 src1_sel:DWORD
	s_nop 1
	v_cndmask_b32_e64 v1, v1, v3, s[2:3]
; %bb.104:                              ;   in Loop: Header=BB63_8 Depth=1
	s_or_b64 exec, exec, s[10:11]
	v_mov_b32_e32 v5, v9
	v_add_u32_e32 v4, s22, v0
	v_add_u32_e32 v0, 6, v8
	v_lshl_add_u64 v[4:5], v[4:5], 1, s[28:29]
	v_cmp_gt_u32_e64 s[2:3], s22, v0
	global_store_short_d16_hi v[4:5], v1, off
	s_and_b64 exec, exec, s[2:3]
	s_cbranch_execz .LBB63_110
; %bb.105:                              ;   in Loop: Header=BB63_8 Depth=1
	scratch_load_dwordx4 v[4:7], off, off offset:832
	s_waitcnt vmcnt(0)
	v_mul_f32_e32 v1, s23, v4
	v_mul_f32_e32 v3, s33, v1
	v_and_b32_e32 v1, 0x7f800000, v3
	v_cmp_ne_u32_e64 s[2:3], s42, v1
                                        ; implicit-def: $vgpr1
	s_and_saveexec_b64 s[10:11], s[2:3]
	s_xor_b64 s[2:3], exec, s[10:11]
; %bb.106:                              ;   in Loop: Header=BB63_8 Depth=1
	v_bfe_u32 v1, v3, 16, 1
	v_add3_u32 v1, v3, v1, s43
                                        ; implicit-def: $vgpr3
; %bb.107:                              ;   in Loop: Header=BB63_8 Depth=1
	s_andn2_saveexec_b64 s[10:11], s[2:3]
; %bb.108:                              ;   in Loop: Header=BB63_8 Depth=1
	v_or_b32_e32 v1, 0x10000, v3
	v_cmp_eq_u32_sdwa s[2:3], v3, v9 src0_sel:WORD_0 src1_sel:DWORD
	s_nop 1
	v_cndmask_b32_e64 v1, v1, v3, s[2:3]
; %bb.109:                              ;   in Loop: Header=BB63_8 Depth=1
	s_or_b64 exec, exec, s[10:11]
	v_mov_b32_e32 v5, v9
	v_add_u32_e32 v4, s22, v0
	v_lshl_add_u64 v[4:5], v[4:5], 1, s[28:29]
	global_store_short_d16_hi v[4:5], v1, off
.LBB63_110:                             ;   in Loop: Header=BB63_8 Depth=1
	s_or_b64 exec, exec, s[8:9]
	scratch_load_dwordx4 v[4:7], off, off offset:896
	s_waitcnt vmcnt(0)
	v_mul_f32_e32 v0, s23, v4
	v_mul_f32_e32 v1, s33, v0
	v_and_b32_e32 v0, 0x7f800000, v1
	v_cmp_ne_u32_e64 s[2:3], s42, v0
                                        ; implicit-def: $vgpr0
	s_and_saveexec_b64 s[8:9], s[2:3]
	s_xor_b64 s[2:3], exec, s[8:9]
; %bb.111:                              ;   in Loop: Header=BB63_8 Depth=1
	v_bfe_u32 v0, v1, 16, 1
	v_add3_u32 v0, v1, v0, s43
                                        ; implicit-def: $vgpr1
; %bb.112:                              ;   in Loop: Header=BB63_8 Depth=1
	s_andn2_saveexec_b64 s[8:9], s[2:3]
; %bb.113:                              ;   in Loop: Header=BB63_8 Depth=1
	v_or_b32_e32 v0, 0x10000, v1
	v_cmp_eq_u32_sdwa s[2:3], v1, v9 src0_sel:WORD_0 src1_sel:DWORD
	s_nop 1
	v_cndmask_b32_e64 v0, v0, v1, s[2:3]
; %bb.114:                              ;   in Loop: Header=BB63_8 Depth=1
	s_or_b64 exec, exec, s[8:9]
	v_mov_b32_e32 v5, v9
	v_add_u32_e32 v4, s39, v8
	v_lshl_add_u64 v[4:5], v[4:5], 1, s[28:29]
	global_store_short_d16_hi v[4:5], v0, off
	s_and_saveexec_b64 s[8:9], vcc
	s_cbranch_execz .LBB63_145
; %bb.115:                              ;   in Loop: Header=BB63_8 Depth=1
	scratch_load_dwordx4 v[4:7], off, off offset:960
	s_waitcnt vmcnt(0)
	v_mul_f32_e32 v0, s23, v4
	v_mul_f32_e32 v1, s33, v0
	v_and_b32_e32 v0, 0x7f800000, v1
	v_cmp_ne_u32_e64 s[2:3], s42, v0
                                        ; implicit-def: $vgpr0
	s_and_saveexec_b64 s[10:11], s[2:3]
	s_xor_b64 s[2:3], exec, s[10:11]
; %bb.116:                              ;   in Loop: Header=BB63_8 Depth=1
	v_bfe_u32 v0, v1, 16, 1
	v_add3_u32 v0, v1, v0, s43
                                        ; implicit-def: $vgpr1
; %bb.117:                              ;   in Loop: Header=BB63_8 Depth=1
	s_andn2_saveexec_b64 s[10:11], s[2:3]
; %bb.118:                              ;   in Loop: Header=BB63_8 Depth=1
	v_or_b32_e32 v0, 0x10000, v1
	v_cmp_eq_u32_sdwa s[2:3], v1, v9 src0_sel:WORD_0 src1_sel:DWORD
	s_nop 1
	v_cndmask_b32_e64 v0, v0, v1, s[2:3]
; %bb.119:                              ;   in Loop: Header=BB63_8 Depth=1
	s_or_b64 exec, exec, s[10:11]
	v_mov_b32_e32 v5, v9
	v_add_u32_e32 v4, s39, v2
	v_lshl_add_u64 v[4:5], v[4:5], 1, s[28:29]
	global_store_short_d16_hi v[4:5], v0, off
	v_add_u32_e32 v0, 2, v8
	v_cmp_gt_u32_e64 s[2:3], s22, v0
	s_and_b64 exec, exec, s[2:3]
	s_cbranch_execz .LBB63_145
; %bb.120:                              ;   in Loop: Header=BB63_8 Depth=1
	scratch_load_dwordx4 v[4:7], off, off offset:1024
	s_waitcnt vmcnt(0)
	v_mul_f32_e32 v1, s23, v4
	v_mul_f32_e32 v3, s33, v1
	v_and_b32_e32 v1, 0x7f800000, v3
	v_cmp_ne_u32_e64 s[2:3], s42, v1
                                        ; implicit-def: $vgpr1
	s_and_saveexec_b64 s[10:11], s[2:3]
	s_xor_b64 s[2:3], exec, s[10:11]
; %bb.121:                              ;   in Loop: Header=BB63_8 Depth=1
	v_bfe_u32 v1, v3, 16, 1
	v_add3_u32 v1, v3, v1, s43
                                        ; implicit-def: $vgpr3
; %bb.122:                              ;   in Loop: Header=BB63_8 Depth=1
	s_andn2_saveexec_b64 s[10:11], s[2:3]
; %bb.123:                              ;   in Loop: Header=BB63_8 Depth=1
	v_or_b32_e32 v1, 0x10000, v3
	v_cmp_eq_u32_sdwa s[2:3], v3, v9 src0_sel:WORD_0 src1_sel:DWORD
	s_nop 1
	v_cndmask_b32_e64 v1, v1, v3, s[2:3]
; %bb.124:                              ;   in Loop: Header=BB63_8 Depth=1
	s_or_b64 exec, exec, s[10:11]
	v_mov_b32_e32 v5, v9
	v_add_u32_e32 v4, s39, v0
	v_add_u32_e32 v0, 3, v8
	v_lshl_add_u64 v[4:5], v[4:5], 1, s[28:29]
	v_cmp_gt_u32_e64 s[2:3], s22, v0
	global_store_short_d16_hi v[4:5], v1, off
	s_and_b64 exec, exec, s[2:3]
	s_cbranch_execz .LBB63_145
; %bb.125:                              ;   in Loop: Header=BB63_8 Depth=1
	scratch_load_dwordx4 v[4:7], off, off offset:1088
	s_waitcnt vmcnt(0)
	v_mul_f32_e32 v1, s23, v4
	v_mul_f32_e32 v3, s33, v1
	v_and_b32_e32 v1, 0x7f800000, v3
	v_cmp_ne_u32_e64 s[2:3], s42, v1
                                        ; implicit-def: $vgpr1
	s_and_saveexec_b64 s[10:11], s[2:3]
	s_xor_b64 s[2:3], exec, s[10:11]
; %bb.126:                              ;   in Loop: Header=BB63_8 Depth=1
	v_bfe_u32 v1, v3, 16, 1
	v_add3_u32 v1, v3, v1, s43
                                        ; implicit-def: $vgpr3
; %bb.127:                              ;   in Loop: Header=BB63_8 Depth=1
	s_andn2_saveexec_b64 s[10:11], s[2:3]
; %bb.128:                              ;   in Loop: Header=BB63_8 Depth=1
	v_or_b32_e32 v1, 0x10000, v3
	v_cmp_eq_u32_sdwa s[2:3], v3, v9 src0_sel:WORD_0 src1_sel:DWORD
	s_nop 1
	v_cndmask_b32_e64 v1, v1, v3, s[2:3]
; %bb.129:                              ;   in Loop: Header=BB63_8 Depth=1
	s_or_b64 exec, exec, s[10:11]
	v_mov_b32_e32 v5, v9
	v_add_u32_e32 v4, s39, v0
	v_add_u32_e32 v0, 4, v8
	v_lshl_add_u64 v[4:5], v[4:5], 1, s[28:29]
	v_cmp_gt_u32_e64 s[2:3], s22, v0
	global_store_short_d16_hi v[4:5], v1, off
	;; [unrolled: 31-line block ×4, first 2 shown]
	s_and_b64 exec, exec, s[2:3]
	s_cbranch_execz .LBB63_145
; %bb.140:                              ;   in Loop: Header=BB63_8 Depth=1
	scratch_load_dwordx4 v[4:7], off, off offset:1280
	s_waitcnt vmcnt(0)
	v_mul_f32_e32 v1, s23, v4
	v_mul_f32_e32 v3, s33, v1
	v_and_b32_e32 v1, 0x7f800000, v3
	v_cmp_ne_u32_e64 s[2:3], s42, v1
                                        ; implicit-def: $vgpr1
	s_and_saveexec_b64 s[10:11], s[2:3]
	s_xor_b64 s[2:3], exec, s[10:11]
; %bb.141:                              ;   in Loop: Header=BB63_8 Depth=1
	v_bfe_u32 v1, v3, 16, 1
	v_add3_u32 v1, v3, v1, s43
                                        ; implicit-def: $vgpr3
; %bb.142:                              ;   in Loop: Header=BB63_8 Depth=1
	s_andn2_saveexec_b64 s[10:11], s[2:3]
; %bb.143:                              ;   in Loop: Header=BB63_8 Depth=1
	v_or_b32_e32 v1, 0x10000, v3
	v_cmp_eq_u32_sdwa s[2:3], v3, v9 src0_sel:WORD_0 src1_sel:DWORD
	s_nop 1
	v_cndmask_b32_e64 v1, v1, v3, s[2:3]
; %bb.144:                              ;   in Loop: Header=BB63_8 Depth=1
	s_or_b64 exec, exec, s[10:11]
	v_mov_b32_e32 v5, v9
	v_add_u32_e32 v4, s39, v0
	v_lshl_add_u64 v[4:5], v[4:5], 1, s[28:29]
	global_store_short_d16_hi v[4:5], v1, off
.LBB63_145:                             ;   in Loop: Header=BB63_8 Depth=1
	s_or_b64 exec, exec, s[8:9]
	scratch_load_dwordx4 v[4:7], off, off offset:1344
	s_waitcnt vmcnt(0)
	v_mul_f32_e32 v0, s23, v4
	v_mul_f32_e32 v1, s33, v0
	v_and_b32_e32 v0, 0x7f800000, v1
	v_cmp_ne_u32_e64 s[2:3], s42, v0
                                        ; implicit-def: $vgpr0
	s_and_saveexec_b64 s[8:9], s[2:3]
	s_xor_b64 s[2:3], exec, s[8:9]
; %bb.146:                              ;   in Loop: Header=BB63_8 Depth=1
	v_bfe_u32 v0, v1, 16, 1
	v_add3_u32 v0, v1, v0, s43
                                        ; implicit-def: $vgpr1
; %bb.147:                              ;   in Loop: Header=BB63_8 Depth=1
	s_andn2_saveexec_b64 s[8:9], s[2:3]
; %bb.148:                              ;   in Loop: Header=BB63_8 Depth=1
	v_or_b32_e32 v0, 0x10000, v1
	v_cmp_eq_u32_sdwa s[2:3], v1, v9 src0_sel:WORD_0 src1_sel:DWORD
	s_nop 1
	v_cndmask_b32_e64 v0, v0, v1, s[2:3]
; %bb.149:                              ;   in Loop: Header=BB63_8 Depth=1
	s_or_b64 exec, exec, s[8:9]
	v_mov_b32_e32 v5, v9
	v_add_u32_e32 v4, s40, v8
	v_mov_b32_e32 v1, v9
	v_lshl_add_u64 v[4:5], v[4:5], 1, s[28:29]
	scratch_store_dwordx2 off, v[0:1], off offset:1904 ; 8-byte Folded Spill
	global_store_short_d16_hi v[4:5], v0, off
	s_and_b64 exec, exec, vcc
	s_cbranch_execz .LBB63_7
; %bb.150:                              ;   in Loop: Header=BB63_8 Depth=1
	scratch_load_dwordx4 v[4:7], off, off offset:1408
	s_waitcnt vmcnt(0)
	v_mul_f32_e32 v0, s23, v4
	v_mul_f32_e32 v1, s33, v0
	v_and_b32_e32 v0, 0x7f800000, v1
	v_cmp_ne_u32_e32 vcc, s42, v0
                                        ; implicit-def: $vgpr0
	s_and_saveexec_b64 s[2:3], vcc
	s_xor_b64 s[2:3], exec, s[2:3]
; %bb.151:                              ;   in Loop: Header=BB63_8 Depth=1
	v_bfe_u32 v0, v1, 16, 1
	v_add3_u32 v0, v1, v0, s43
                                        ; implicit-def: $vgpr1
; %bb.152:                              ;   in Loop: Header=BB63_8 Depth=1
	s_andn2_saveexec_b64 s[2:3], s[2:3]
	s_cbranch_execz .LBB63_154
; %bb.153:                              ;   in Loop: Header=BB63_8 Depth=1
	scratch_load_dwordx2 v[4:5], off, off offset:1904 ; 8-byte Folded Reload
	v_or_b32_e32 v0, 0x10000, v1
	s_waitcnt vmcnt(0)
	v_cmp_eq_u32_sdwa vcc, v1, v5 src0_sel:WORD_0 src1_sel:DWORD
	s_nop 1
	v_cndmask_b32_e32 v0, v0, v1, vcc
.LBB63_154:                             ;   in Loop: Header=BB63_8 Depth=1
	s_or_b64 exec, exec, s[2:3]
	scratch_load_dwordx2 v[4:5], off, off offset:1904 ; 8-byte Folded Reload
	v_add_u32_e32 v2, s40, v2
	s_waitcnt vmcnt(0)
	v_mov_b32_e32 v3, v5
	v_mov_b32_e32 v1, v5
	v_lshl_add_u64 v[2:3], v[2:3], 1, s[28:29]
	scratch_store_dwordx2 off, v[0:1], off offset:1904 ; 8-byte Folded Spill
	global_store_short_d16_hi v[2:3], v0, off
	v_add_u32_e32 v0, 2, v8
	v_cmp_gt_u32_e32 vcc, s22, v0
	s_and_b64 exec, exec, vcc
	s_cbranch_execz .LBB63_7
; %bb.155:                              ;   in Loop: Header=BB63_8 Depth=1
	scratch_load_dwordx4 v[2:5], off, off offset:1472
	s_waitcnt vmcnt(0)
	v_mul_f32_e32 v1, s23, v2
	v_mul_f32_e32 v2, s33, v1
	v_and_b32_e32 v1, 0x7f800000, v2
	v_cmp_ne_u32_e32 vcc, s42, v1
                                        ; implicit-def: $vgpr1
	s_and_saveexec_b64 s[2:3], vcc
	s_xor_b64 s[2:3], exec, s[2:3]
; %bb.156:                              ;   in Loop: Header=BB63_8 Depth=1
	v_bfe_u32 v1, v2, 16, 1
	v_add3_u32 v1, v2, v1, s43
                                        ; implicit-def: $vgpr2
; %bb.157:                              ;   in Loop: Header=BB63_8 Depth=1
	s_andn2_saveexec_b64 s[2:3], s[2:3]
	s_cbranch_execz .LBB63_159
; %bb.158:                              ;   in Loop: Header=BB63_8 Depth=1
	scratch_load_dwordx2 v[4:5], off, off offset:1904 ; 8-byte Folded Reload
	v_or_b32_e32 v1, 0x10000, v2
	s_waitcnt vmcnt(0)
	v_cmp_eq_u32_sdwa vcc, v2, v5 src0_sel:WORD_0 src1_sel:DWORD
	s_nop 1
	v_cndmask_b32_e32 v1, v1, v2, vcc
.LBB63_159:                             ;   in Loop: Header=BB63_8 Depth=1
	s_or_b64 exec, exec, s[2:3]
	scratch_load_dwordx2 v[2:3], off, off offset:1904 ; 8-byte Folded Reload
	v_add_u32_e32 v4, s40, v0
	v_add_u32_e32 v0, 3, v8
	v_cmp_gt_u32_e32 vcc, s22, v0
	s_waitcnt vmcnt(0)
	v_mov_b32_e32 v5, v3
	scratch_store_dwordx2 off, v[2:3], off offset:1904 ; 8-byte Folded Spill
	v_lshl_add_u64 v[2:3], v[4:5], 1, s[28:29]
	global_store_short_d16_hi v[2:3], v1, off
	s_and_b64 exec, exec, vcc
	s_cbranch_execz .LBB63_7
; %bb.160:                              ;   in Loop: Header=BB63_8 Depth=1
	scratch_load_dwordx4 v[2:5], off, off offset:1536
	s_waitcnt vmcnt(0)
	v_mul_f32_e32 v1, s23, v2
	v_mul_f32_e32 v2, s33, v1
	v_and_b32_e32 v1, 0x7f800000, v2
	v_cmp_ne_u32_e32 vcc, s42, v1
                                        ; implicit-def: $vgpr1
	s_and_saveexec_b64 s[2:3], vcc
	s_xor_b64 s[2:3], exec, s[2:3]
; %bb.161:                              ;   in Loop: Header=BB63_8 Depth=1
	v_bfe_u32 v1, v2, 16, 1
	v_add3_u32 v1, v2, v1, s43
                                        ; implicit-def: $vgpr2
; %bb.162:                              ;   in Loop: Header=BB63_8 Depth=1
	s_andn2_saveexec_b64 s[2:3], s[2:3]
	s_cbranch_execz .LBB63_164
; %bb.163:                              ;   in Loop: Header=BB63_8 Depth=1
	scratch_load_dwordx2 v[4:5], off, off offset:1904 ; 8-byte Folded Reload
	v_or_b32_e32 v1, 0x10000, v2
	s_waitcnt vmcnt(0)
	v_cmp_eq_u32_sdwa vcc, v2, v5 src0_sel:WORD_0 src1_sel:DWORD
	s_nop 1
	v_cndmask_b32_e32 v1, v1, v2, vcc
.LBB63_164:                             ;   in Loop: Header=BB63_8 Depth=1
	s_or_b64 exec, exec, s[2:3]
	scratch_load_dwordx2 v[2:3], off, off offset:1904 ; 8-byte Folded Reload
	v_add_u32_e32 v4, s40, v0
	v_add_u32_e32 v0, 4, v8
	v_cmp_gt_u32_e32 vcc, s22, v0
	s_waitcnt vmcnt(0)
	v_mov_b32_e32 v5, v3
	scratch_store_dwordx2 off, v[2:3], off offset:1904 ; 8-byte Folded Spill
	v_lshl_add_u64 v[2:3], v[4:5], 1, s[28:29]
	global_store_short_d16_hi v[2:3], v1, off
	;; [unrolled: 37-line block ×4, first 2 shown]
	s_and_b64 exec, exec, vcc
	s_cbranch_execz .LBB63_7
; %bb.175:                              ;   in Loop: Header=BB63_8 Depth=1
	scratch_load_dwordx4 v[2:5], off, off offset:1728
	s_waitcnt vmcnt(0)
	v_mul_f32_e32 v1, s23, v2
	v_mul_f32_e32 v2, s33, v1
	v_and_b32_e32 v1, 0x7f800000, v2
	v_cmp_ne_u32_e32 vcc, s42, v1
                                        ; implicit-def: $vgpr1
	s_and_saveexec_b64 s[2:3], vcc
	s_xor_b64 s[2:3], exec, s[2:3]
; %bb.176:                              ;   in Loop: Header=BB63_8 Depth=1
	v_bfe_u32 v1, v2, 16, 1
	v_add3_u32 v1, v2, v1, s43
                                        ; implicit-def: $vgpr2
; %bb.177:                              ;   in Loop: Header=BB63_8 Depth=1
	s_andn2_saveexec_b64 s[2:3], s[2:3]
	s_cbranch_execz .LBB63_6
; %bb.178:                              ;   in Loop: Header=BB63_8 Depth=1
	scratch_load_dwordx2 v[4:5], off, off offset:1904 ; 8-byte Folded Reload
	v_or_b32_e32 v1, 0x10000, v2
	s_waitcnt vmcnt(0)
	v_cmp_eq_u32_sdwa vcc, v2, v5 src0_sel:WORD_0 src1_sel:DWORD
	s_nop 1
	v_cndmask_b32_e32 v1, v1, v2, vcc
	s_branch .LBB63_6
.LBB63_179:
	s_endpgm
	.section	.rodata,"a",@progbits
	.p2align	6, 0x0
	.amdhsa_kernel _Z13wvSplitKQ_hf_I14__hip_bfloat16N3c1015Float8_e4m3fnuzELi64ELi7ELi16ELi16ELi1ELi4EEviiiPKT0_S5_PT_PKfS9_ii
		.amdhsa_group_segment_fixed_size 65536
		.amdhsa_private_segment_fixed_size 3904
		.amdhsa_kernarg_size 64
		.amdhsa_user_sgpr_count 2
		.amdhsa_user_sgpr_dispatch_ptr 0
		.amdhsa_user_sgpr_queue_ptr 0
		.amdhsa_user_sgpr_kernarg_segment_ptr 1
		.amdhsa_user_sgpr_dispatch_id 0
		.amdhsa_user_sgpr_kernarg_preload_length 0
		.amdhsa_user_sgpr_kernarg_preload_offset 0
		.amdhsa_user_sgpr_private_segment_size 0
		.amdhsa_uses_dynamic_stack 0
		.amdhsa_enable_private_segment 1
		.amdhsa_system_sgpr_workgroup_id_x 1
		.amdhsa_system_sgpr_workgroup_id_y 0
		.amdhsa_system_sgpr_workgroup_id_z 0
		.amdhsa_system_sgpr_workgroup_info 0
		.amdhsa_system_vgpr_workitem_id 1
		.amdhsa_next_free_vgpr 128
		.amdhsa_next_free_sgpr 45
		.amdhsa_accum_offset 128
		.amdhsa_reserve_vcc 1
		.amdhsa_float_round_mode_32 0
		.amdhsa_float_round_mode_16_64 0
		.amdhsa_float_denorm_mode_32 3
		.amdhsa_float_denorm_mode_16_64 3
		.amdhsa_dx10_clamp 1
		.amdhsa_ieee_mode 1
		.amdhsa_fp16_overflow 0
		.amdhsa_tg_split 0
		.amdhsa_exception_fp_ieee_invalid_op 0
		.amdhsa_exception_fp_denorm_src 0
		.amdhsa_exception_fp_ieee_div_zero 0
		.amdhsa_exception_fp_ieee_overflow 0
		.amdhsa_exception_fp_ieee_underflow 0
		.amdhsa_exception_fp_ieee_inexact 0
		.amdhsa_exception_int_div_zero 0
	.end_amdhsa_kernel
	.section	.text._Z13wvSplitKQ_hf_I14__hip_bfloat16N3c1015Float8_e4m3fnuzELi64ELi7ELi16ELi16ELi1ELi4EEviiiPKT0_S5_PT_PKfS9_ii,"axG",@progbits,_Z13wvSplitKQ_hf_I14__hip_bfloat16N3c1015Float8_e4m3fnuzELi64ELi7ELi16ELi16ELi1ELi4EEviiiPKT0_S5_PT_PKfS9_ii,comdat
.Lfunc_end63:
	.size	_Z13wvSplitKQ_hf_I14__hip_bfloat16N3c1015Float8_e4m3fnuzELi64ELi7ELi16ELi16ELi1ELi4EEviiiPKT0_S5_PT_PKfS9_ii, .Lfunc_end63-_Z13wvSplitKQ_hf_I14__hip_bfloat16N3c1015Float8_e4m3fnuzELi64ELi7ELi16ELi16ELi1ELi4EEviiiPKT0_S5_PT_PKfS9_ii
                                        ; -- End function
	.section	.AMDGPU.csdata,"",@progbits
; Kernel info:
; codeLenInByte = 13308
; NumSgprs: 51
; NumVgprs: 128
; NumAgprs: 0
; TotalNumVgprs: 128
; ScratchSize: 3904
; MemoryBound: 1
; FloatMode: 240
; IeeeMode: 1
; LDSByteSize: 65536 bytes/workgroup (compile time only)
; SGPRBlocks: 6
; VGPRBlocks: 15
; NumSGPRsForWavesPerEU: 51
; NumVGPRsForWavesPerEU: 128
; AccumOffset: 128
; Occupancy: 4
; WaveLimiterHint : 1
; COMPUTE_PGM_RSRC2:SCRATCH_EN: 1
; COMPUTE_PGM_RSRC2:USER_SGPR: 2
; COMPUTE_PGM_RSRC2:TRAP_HANDLER: 0
; COMPUTE_PGM_RSRC2:TGID_X_EN: 1
; COMPUTE_PGM_RSRC2:TGID_Y_EN: 0
; COMPUTE_PGM_RSRC2:TGID_Z_EN: 0
; COMPUTE_PGM_RSRC2:TIDIG_COMP_CNT: 1
; COMPUTE_PGM_RSRC3_GFX90A:ACCUM_OFFSET: 31
; COMPUTE_PGM_RSRC3_GFX90A:TG_SPLIT: 0
	.text
	.p2alignl 6, 3212836864
	.fill 256, 4, 3212836864
	.type	__hip_cuid_cc0c080fbcbcfa0b,@object ; @__hip_cuid_cc0c080fbcbcfa0b
	.section	.bss,"aw",@nobits
	.globl	__hip_cuid_cc0c080fbcbcfa0b
__hip_cuid_cc0c080fbcbcfa0b:
	.byte	0                               ; 0x0
	.size	__hip_cuid_cc0c080fbcbcfa0b, 1

	.ident	"AMD clang version 19.0.0git (https://github.com/RadeonOpenCompute/llvm-project roc-6.4.0 25133 c7fe45cf4b819c5991fe208aaa96edf142730f1d)"
	.section	".note.GNU-stack","",@progbits
	.addrsig
	.addrsig_sym __hip_cuid_cc0c080fbcbcfa0b
	.amdgpu_metadata
---
amdhsa.kernels:
  - .agpr_count:     0
    .args:
      - .address_space:  global
        .offset:         0
        .size:           8
        .value_kind:     global_buffer
      - .address_space:  global
        .offset:         8
        .size:           8
        .value_kind:     global_buffer
      - .address_space:  global
        .offset:         16
        .size:           8
        .value_kind:     global_buffer
      - .offset:         24
        .size:           4
        .value_kind:     by_value
      - .offset:         32
        .size:           4
        .value_kind:     hidden_block_count_x
      - .offset:         36
        .size:           4
        .value_kind:     hidden_block_count_y
      - .offset:         40
        .size:           4
        .value_kind:     hidden_block_count_z
      - .offset:         44
        .size:           2
        .value_kind:     hidden_group_size_x
      - .offset:         46
        .size:           2
        .value_kind:     hidden_group_size_y
      - .offset:         48
        .size:           2
        .value_kind:     hidden_group_size_z
      - .offset:         50
        .size:           2
        .value_kind:     hidden_remainder_x
      - .offset:         52
        .size:           2
        .value_kind:     hidden_remainder_y
      - .offset:         54
        .size:           2
        .value_kind:     hidden_remainder_z
      - .offset:         72
        .size:           8
        .value_kind:     hidden_global_offset_x
      - .offset:         80
        .size:           8
        .value_kind:     hidden_global_offset_y
      - .offset:         88
        .size:           8
        .value_kind:     hidden_global_offset_z
      - .offset:         96
        .size:           2
        .value_kind:     hidden_grid_dims
    .group_segment_fixed_size: 512
    .kernarg_segment_align: 8
    .kernarg_segment_size: 288
    .language:       OpenCL C
    .language_version:
      - 2
      - 0
    .max_flat_workgroup_size: 1024
    .name:           _Z14LLGemm1_kernelIN3c104HalfELi2EEvPKT_S4_PS2_i
    .private_segment_fixed_size: 0
    .sgpr_count:     18
    .sgpr_spill_count: 0
    .symbol:         _Z14LLGemm1_kernelIN3c104HalfELi2EEvPKT_S4_PS2_i.kd
    .uniform_work_group_size: 1
    .uses_dynamic_stack: false
    .vgpr_count:     14
    .vgpr_spill_count: 0
    .wavefront_size: 64
  - .agpr_count:     0
    .args:
      - .address_space:  global
        .offset:         0
        .size:           8
        .value_kind:     global_buffer
      - .address_space:  global
        .offset:         8
        .size:           8
        .value_kind:     global_buffer
      - .address_space:  global
        .offset:         16
        .size:           8
        .value_kind:     global_buffer
      - .offset:         24
        .size:           4
        .value_kind:     by_value
      - .offset:         32
        .size:           4
        .value_kind:     hidden_block_count_x
      - .offset:         36
        .size:           4
        .value_kind:     hidden_block_count_y
      - .offset:         40
        .size:           4
        .value_kind:     hidden_block_count_z
      - .offset:         44
        .size:           2
        .value_kind:     hidden_group_size_x
      - .offset:         46
        .size:           2
        .value_kind:     hidden_group_size_y
      - .offset:         48
        .size:           2
        .value_kind:     hidden_group_size_z
      - .offset:         50
        .size:           2
        .value_kind:     hidden_remainder_x
      - .offset:         52
        .size:           2
        .value_kind:     hidden_remainder_y
      - .offset:         54
        .size:           2
        .value_kind:     hidden_remainder_z
      - .offset:         72
        .size:           8
        .value_kind:     hidden_global_offset_x
      - .offset:         80
        .size:           8
        .value_kind:     hidden_global_offset_y
      - .offset:         88
        .size:           8
        .value_kind:     hidden_global_offset_z
      - .offset:         96
        .size:           2
        .value_kind:     hidden_grid_dims
    .group_segment_fixed_size: 1024
    .kernarg_segment_align: 8
    .kernarg_segment_size: 288
    .language:       OpenCL C
    .language_version:
      - 2
      - 0
    .max_flat_workgroup_size: 1024
    .name:           _Z14LLGemm1_kernelIN3c104HalfELi4EEvPKT_S4_PS2_i
    .private_segment_fixed_size: 0
    .sgpr_count:     20
    .sgpr_spill_count: 0
    .symbol:         _Z14LLGemm1_kernelIN3c104HalfELi4EEvPKT_S4_PS2_i.kd
    .uniform_work_group_size: 1
    .uses_dynamic_stack: false
    .vgpr_count:     22
    .vgpr_spill_count: 0
    .wavefront_size: 64
  - .agpr_count:     0
    .args:
      - .address_space:  global
        .offset:         0
        .size:           8
        .value_kind:     global_buffer
      - .address_space:  global
        .offset:         8
        .size:           8
        .value_kind:     global_buffer
      - .address_space:  global
        .offset:         16
        .size:           8
        .value_kind:     global_buffer
      - .offset:         24
        .size:           4
        .value_kind:     by_value
      - .offset:         32
        .size:           4
        .value_kind:     hidden_block_count_x
      - .offset:         36
        .size:           4
        .value_kind:     hidden_block_count_y
      - .offset:         40
        .size:           4
        .value_kind:     hidden_block_count_z
      - .offset:         44
        .size:           2
        .value_kind:     hidden_group_size_x
      - .offset:         46
        .size:           2
        .value_kind:     hidden_group_size_y
      - .offset:         48
        .size:           2
        .value_kind:     hidden_group_size_z
      - .offset:         50
        .size:           2
        .value_kind:     hidden_remainder_x
      - .offset:         52
        .size:           2
        .value_kind:     hidden_remainder_y
      - .offset:         54
        .size:           2
        .value_kind:     hidden_remainder_z
      - .offset:         72
        .size:           8
        .value_kind:     hidden_global_offset_x
      - .offset:         80
        .size:           8
        .value_kind:     hidden_global_offset_y
      - .offset:         88
        .size:           8
        .value_kind:     hidden_global_offset_z
      - .offset:         96
        .size:           2
        .value_kind:     hidden_grid_dims
    .group_segment_fixed_size: 2048
    .kernarg_segment_align: 8
    .kernarg_segment_size: 288
    .language:       OpenCL C
    .language_version:
      - 2
      - 0
    .max_flat_workgroup_size: 1024
    .name:           _Z14LLGemm1_kernelIN3c104HalfELi8EEvPKT_S4_PS2_i
    .private_segment_fixed_size: 0
    .sgpr_count:     20
    .sgpr_spill_count: 0
    .symbol:         _Z14LLGemm1_kernelIN3c104HalfELi8EEvPKT_S4_PS2_i.kd
    .uniform_work_group_size: 1
    .uses_dynamic_stack: false
    .vgpr_count:     38
    .vgpr_spill_count: 0
    .wavefront_size: 64
  - .agpr_count:     0
    .args:
      - .address_space:  global
        .offset:         0
        .size:           8
        .value_kind:     global_buffer
      - .address_space:  global
        .offset:         8
        .size:           8
        .value_kind:     global_buffer
      - .address_space:  global
        .offset:         16
        .size:           8
        .value_kind:     global_buffer
      - .offset:         24
        .size:           4
        .value_kind:     by_value
      - .offset:         32
        .size:           4
        .value_kind:     hidden_block_count_x
      - .offset:         36
        .size:           4
        .value_kind:     hidden_block_count_y
      - .offset:         40
        .size:           4
        .value_kind:     hidden_block_count_z
      - .offset:         44
        .size:           2
        .value_kind:     hidden_group_size_x
      - .offset:         46
        .size:           2
        .value_kind:     hidden_group_size_y
      - .offset:         48
        .size:           2
        .value_kind:     hidden_group_size_z
      - .offset:         50
        .size:           2
        .value_kind:     hidden_remainder_x
      - .offset:         52
        .size:           2
        .value_kind:     hidden_remainder_y
      - .offset:         54
        .size:           2
        .value_kind:     hidden_remainder_z
      - .offset:         72
        .size:           8
        .value_kind:     hidden_global_offset_x
      - .offset:         80
        .size:           8
        .value_kind:     hidden_global_offset_y
      - .offset:         88
        .size:           8
        .value_kind:     hidden_global_offset_z
      - .offset:         96
        .size:           2
        .value_kind:     hidden_grid_dims
    .group_segment_fixed_size: 4096
    .kernarg_segment_align: 8
    .kernarg_segment_size: 288
    .language:       OpenCL C
    .language_version:
      - 2
      - 0
    .max_flat_workgroup_size: 1024
    .name:           _Z14LLGemm1_kernelIN3c104HalfELi16EEvPKT_S4_PS2_i
    .private_segment_fixed_size: 0
    .sgpr_count:     20
    .sgpr_spill_count: 0
    .symbol:         _Z14LLGemm1_kernelIN3c104HalfELi16EEvPKT_S4_PS2_i.kd
    .uniform_work_group_size: 1
    .uses_dynamic_stack: false
    .vgpr_count:     70
    .vgpr_spill_count: 0
    .wavefront_size: 64
  - .agpr_count:     0
    .args:
      - .address_space:  global
        .offset:         0
        .size:           8
        .value_kind:     global_buffer
      - .address_space:  global
        .offset:         8
        .size:           8
        .value_kind:     global_buffer
      - .address_space:  global
        .offset:         16
        .size:           8
        .value_kind:     global_buffer
      - .offset:         24
        .size:           4
        .value_kind:     by_value
      - .offset:         32
        .size:           4
        .value_kind:     hidden_block_count_x
      - .offset:         36
        .size:           4
        .value_kind:     hidden_block_count_y
      - .offset:         40
        .size:           4
        .value_kind:     hidden_block_count_z
      - .offset:         44
        .size:           2
        .value_kind:     hidden_group_size_x
      - .offset:         46
        .size:           2
        .value_kind:     hidden_group_size_y
      - .offset:         48
        .size:           2
        .value_kind:     hidden_group_size_z
      - .offset:         50
        .size:           2
        .value_kind:     hidden_remainder_x
      - .offset:         52
        .size:           2
        .value_kind:     hidden_remainder_y
      - .offset:         54
        .size:           2
        .value_kind:     hidden_remainder_z
      - .offset:         72
        .size:           8
        .value_kind:     hidden_global_offset_x
      - .offset:         80
        .size:           8
        .value_kind:     hidden_global_offset_y
      - .offset:         88
        .size:           8
        .value_kind:     hidden_global_offset_z
      - .offset:         96
        .size:           2
        .value_kind:     hidden_grid_dims
    .group_segment_fixed_size: 512
    .kernarg_segment_align: 8
    .kernarg_segment_size: 288
    .language:       OpenCL C
    .language_version:
      - 2
      - 0
    .max_flat_workgroup_size: 1024
    .name:           _Z14LLGemm1_kernelIN3c108BFloat16ELi2EEvPKT_S4_PS2_i
    .private_segment_fixed_size: 0
    .sgpr_count:     20
    .sgpr_spill_count: 0
    .symbol:         _Z14LLGemm1_kernelIN3c108BFloat16ELi2EEvPKT_S4_PS2_i.kd
    .uniform_work_group_size: 1
    .uses_dynamic_stack: false
    .vgpr_count:     20
    .vgpr_spill_count: 0
    .wavefront_size: 64
  - .agpr_count:     0
    .args:
      - .address_space:  global
        .offset:         0
        .size:           8
        .value_kind:     global_buffer
      - .address_space:  global
        .offset:         8
        .size:           8
        .value_kind:     global_buffer
      - .address_space:  global
        .offset:         16
        .size:           8
        .value_kind:     global_buffer
      - .offset:         24
        .size:           4
        .value_kind:     by_value
      - .offset:         32
        .size:           4
        .value_kind:     hidden_block_count_x
      - .offset:         36
        .size:           4
        .value_kind:     hidden_block_count_y
      - .offset:         40
        .size:           4
        .value_kind:     hidden_block_count_z
      - .offset:         44
        .size:           2
        .value_kind:     hidden_group_size_x
      - .offset:         46
        .size:           2
        .value_kind:     hidden_group_size_y
      - .offset:         48
        .size:           2
        .value_kind:     hidden_group_size_z
      - .offset:         50
        .size:           2
        .value_kind:     hidden_remainder_x
      - .offset:         52
        .size:           2
        .value_kind:     hidden_remainder_y
      - .offset:         54
        .size:           2
        .value_kind:     hidden_remainder_z
      - .offset:         72
        .size:           8
        .value_kind:     hidden_global_offset_x
      - .offset:         80
        .size:           8
        .value_kind:     hidden_global_offset_y
      - .offset:         88
        .size:           8
        .value_kind:     hidden_global_offset_z
      - .offset:         96
        .size:           2
        .value_kind:     hidden_grid_dims
    .group_segment_fixed_size: 1024
    .kernarg_segment_align: 8
    .kernarg_segment_size: 288
    .language:       OpenCL C
    .language_version:
      - 2
      - 0
    .max_flat_workgroup_size: 1024
    .name:           _Z14LLGemm1_kernelIN3c108BFloat16ELi4EEvPKT_S4_PS2_i
    .private_segment_fixed_size: 0
    .sgpr_count:     20
    .sgpr_spill_count: 0
    .symbol:         _Z14LLGemm1_kernelIN3c108BFloat16ELi4EEvPKT_S4_PS2_i.kd
    .uniform_work_group_size: 1
    .uses_dynamic_stack: false
    .vgpr_count:     28
    .vgpr_spill_count: 0
    .wavefront_size: 64
  - .agpr_count:     0
    .args:
      - .address_space:  global
        .offset:         0
        .size:           8
        .value_kind:     global_buffer
      - .address_space:  global
        .offset:         8
        .size:           8
        .value_kind:     global_buffer
      - .address_space:  global
        .offset:         16
        .size:           8
        .value_kind:     global_buffer
      - .offset:         24
        .size:           4
        .value_kind:     by_value
      - .offset:         32
        .size:           4
        .value_kind:     hidden_block_count_x
      - .offset:         36
        .size:           4
        .value_kind:     hidden_block_count_y
      - .offset:         40
        .size:           4
        .value_kind:     hidden_block_count_z
      - .offset:         44
        .size:           2
        .value_kind:     hidden_group_size_x
      - .offset:         46
        .size:           2
        .value_kind:     hidden_group_size_y
      - .offset:         48
        .size:           2
        .value_kind:     hidden_group_size_z
      - .offset:         50
        .size:           2
        .value_kind:     hidden_remainder_x
      - .offset:         52
        .size:           2
        .value_kind:     hidden_remainder_y
      - .offset:         54
        .size:           2
        .value_kind:     hidden_remainder_z
      - .offset:         72
        .size:           8
        .value_kind:     hidden_global_offset_x
      - .offset:         80
        .size:           8
        .value_kind:     hidden_global_offset_y
      - .offset:         88
        .size:           8
        .value_kind:     hidden_global_offset_z
      - .offset:         96
        .size:           2
        .value_kind:     hidden_grid_dims
    .group_segment_fixed_size: 2048
    .kernarg_segment_align: 8
    .kernarg_segment_size: 288
    .language:       OpenCL C
    .language_version:
      - 2
      - 0
    .max_flat_workgroup_size: 1024
    .name:           _Z14LLGemm1_kernelIN3c108BFloat16ELi8EEvPKT_S4_PS2_i
    .private_segment_fixed_size: 0
    .sgpr_count:     20
    .sgpr_spill_count: 0
    .symbol:         _Z14LLGemm1_kernelIN3c108BFloat16ELi8EEvPKT_S4_PS2_i.kd
    .uniform_work_group_size: 1
    .uses_dynamic_stack: false
    .vgpr_count:     44
    .vgpr_spill_count: 0
    .wavefront_size: 64
  - .agpr_count:     0
    .args:
      - .address_space:  global
        .offset:         0
        .size:           8
        .value_kind:     global_buffer
      - .address_space:  global
        .offset:         8
        .size:           8
        .value_kind:     global_buffer
      - .address_space:  global
        .offset:         16
        .size:           8
        .value_kind:     global_buffer
      - .offset:         24
        .size:           4
        .value_kind:     by_value
      - .offset:         32
        .size:           4
        .value_kind:     hidden_block_count_x
      - .offset:         36
        .size:           4
        .value_kind:     hidden_block_count_y
      - .offset:         40
        .size:           4
        .value_kind:     hidden_block_count_z
      - .offset:         44
        .size:           2
        .value_kind:     hidden_group_size_x
      - .offset:         46
        .size:           2
        .value_kind:     hidden_group_size_y
      - .offset:         48
        .size:           2
        .value_kind:     hidden_group_size_z
      - .offset:         50
        .size:           2
        .value_kind:     hidden_remainder_x
      - .offset:         52
        .size:           2
        .value_kind:     hidden_remainder_y
      - .offset:         54
        .size:           2
        .value_kind:     hidden_remainder_z
      - .offset:         72
        .size:           8
        .value_kind:     hidden_global_offset_x
      - .offset:         80
        .size:           8
        .value_kind:     hidden_global_offset_y
      - .offset:         88
        .size:           8
        .value_kind:     hidden_global_offset_z
      - .offset:         96
        .size:           2
        .value_kind:     hidden_grid_dims
    .group_segment_fixed_size: 4096
    .kernarg_segment_align: 8
    .kernarg_segment_size: 288
    .language:       OpenCL C
    .language_version:
      - 2
      - 0
    .max_flat_workgroup_size: 1024
    .name:           _Z14LLGemm1_kernelIN3c108BFloat16ELi16EEvPKT_S4_PS2_i
    .private_segment_fixed_size: 0
    .sgpr_count:     20
    .sgpr_spill_count: 0
    .symbol:         _Z14LLGemm1_kernelIN3c108BFloat16ELi16EEvPKT_S4_PS2_i.kd
    .uniform_work_group_size: 1
    .uses_dynamic_stack: false
    .vgpr_count:     76
    .vgpr_spill_count: 0
    .wavefront_size: 64
  - .agpr_count:     0
    .args:
      - .offset:         0
        .size:           4
        .value_kind:     by_value
      - .offset:         4
        .size:           4
        .value_kind:     by_value
      - .address_space:  global
        .offset:         8
        .size:           8
        .value_kind:     global_buffer
      - .actual_access:  read_only
        .address_space:  global
        .offset:         16
        .size:           8
        .value_kind:     global_buffer
      - .address_space:  global
        .offset:         24
        .size:           8
        .value_kind:     global_buffer
      - .offset:         32
        .size:           4
        .value_kind:     by_value
      - .offset:         36
        .size:           4
        .value_kind:     by_value
    .group_segment_fixed_size: 65536
    .kernarg_segment_align: 8
    .kernarg_segment_size: 40
    .language:       OpenCL C
    .language_version:
      - 2
      - 0
    .max_flat_workgroup_size: 1024
    .name:           _Z16wvSplitK_hf_sml_I6__halfLi64ELi2ELi16ELi8ELi2ELi1EEviiPKT_S3_PS1_ii
    .private_segment_fixed_size: 0
    .sgpr_count:     29
    .sgpr_spill_count: 0
    .symbol:         _Z16wvSplitK_hf_sml_I6__halfLi64ELi2ELi16ELi8ELi2ELi1EEviiPKT_S3_PS1_ii.kd
    .uniform_work_group_size: 1
    .uses_dynamic_stack: false
    .vgpr_count:     40
    .vgpr_spill_count: 0
    .wavefront_size: 64
  - .agpr_count:     0
    .args:
      - .offset:         0
        .size:           4
        .value_kind:     by_value
      - .offset:         4
        .size:           4
        .value_kind:     by_value
      - .address_space:  global
        .offset:         8
        .size:           8
        .value_kind:     global_buffer
      - .actual_access:  read_only
        .address_space:  global
        .offset:         16
        .size:           8
        .value_kind:     global_buffer
      - .address_space:  global
        .offset:         24
        .size:           8
        .value_kind:     global_buffer
      - .offset:         32
        .size:           4
        .value_kind:     by_value
      - .offset:         36
        .size:           4
        .value_kind:     by_value
    .group_segment_fixed_size: 65536
    .kernarg_segment_align: 8
    .kernarg_segment_size: 40
    .language:       OpenCL C
    .language_version:
      - 2
      - 0
    .max_flat_workgroup_size: 1024
    .name:           _Z12wvSplitK_hf_I6__halfLi64ELi2ELi16ELi8ELi2ELi1EEviiPKT_S3_PS1_ii
    .private_segment_fixed_size: 0
    .sgpr_count:     35
    .sgpr_spill_count: 0
    .symbol:         _Z12wvSplitK_hf_I6__halfLi64ELi2ELi16ELi8ELi2ELi1EEviiPKT_S3_PS1_ii.kd
    .uniform_work_group_size: 1
    .uses_dynamic_stack: false
    .vgpr_count:     44
    .vgpr_spill_count: 0
    .wavefront_size: 64
  - .agpr_count:     0
    .args:
      - .offset:         0
        .size:           4
        .value_kind:     by_value
      - .offset:         4
        .size:           4
        .value_kind:     by_value
      - .address_space:  global
        .offset:         8
        .size:           8
        .value_kind:     global_buffer
      - .actual_access:  read_only
        .address_space:  global
        .offset:         16
        .size:           8
        .value_kind:     global_buffer
      - .address_space:  global
        .offset:         24
        .size:           8
        .value_kind:     global_buffer
      - .offset:         32
        .size:           4
        .value_kind:     by_value
      - .offset:         36
        .size:           4
        .value_kind:     by_value
    .group_segment_fixed_size: 65536
    .kernarg_segment_align: 8
    .kernarg_segment_size: 40
    .language:       OpenCL C
    .language_version:
      - 2
      - 0
    .max_flat_workgroup_size: 1024
    .name:           _Z16wvSplitK_hf_big_I6__halfLi64ELi2ELi16ELi8ELi2ELi1EEviiPKT_S3_PS1_ii
    .private_segment_fixed_size: 0
    .sgpr_count:     48
    .sgpr_spill_count: 0
    .symbol:         _Z16wvSplitK_hf_big_I6__halfLi64ELi2ELi16ELi8ELi2ELi1EEviiPKT_S3_PS1_ii.kd
    .uniform_work_group_size: 1
    .uses_dynamic_stack: false
    .vgpr_count:     42
    .vgpr_spill_count: 0
    .wavefront_size: 64
  - .agpr_count:     0
    .args:
      - .offset:         0
        .size:           4
        .value_kind:     by_value
      - .offset:         4
        .size:           4
        .value_kind:     by_value
      - .address_space:  global
        .offset:         8
        .size:           8
        .value_kind:     global_buffer
      - .actual_access:  read_only
        .address_space:  global
        .offset:         16
        .size:           8
        .value_kind:     global_buffer
      - .address_space:  global
        .offset:         24
        .size:           8
        .value_kind:     global_buffer
      - .offset:         32
        .size:           4
        .value_kind:     by_value
      - .offset:         36
        .size:           4
        .value_kind:     by_value
    .group_segment_fixed_size: 65536
    .kernarg_segment_align: 8
    .kernarg_segment_size: 40
    .language:       OpenCL C
    .language_version:
      - 2
      - 0
    .max_flat_workgroup_size: 1024
    .name:           _Z16wvSplitK_hf_sml_I6__halfLi64ELi2ELi16ELi8ELi2ELi2EEviiPKT_S3_PS1_ii
    .private_segment_fixed_size: 0
    .sgpr_count:     30
    .sgpr_spill_count: 0
    .symbol:         _Z16wvSplitK_hf_sml_I6__halfLi64ELi2ELi16ELi8ELi2ELi2EEviiPKT_S3_PS1_ii.kd
    .uniform_work_group_size: 1
    .uses_dynamic_stack: false
    .vgpr_count:     48
    .vgpr_spill_count: 0
    .wavefront_size: 64
  - .agpr_count:     0
    .args:
      - .offset:         0
        .size:           4
        .value_kind:     by_value
      - .offset:         4
        .size:           4
        .value_kind:     by_value
      - .address_space:  global
        .offset:         8
        .size:           8
        .value_kind:     global_buffer
      - .actual_access:  read_only
        .address_space:  global
        .offset:         16
        .size:           8
        .value_kind:     global_buffer
      - .address_space:  global
        .offset:         24
        .size:           8
        .value_kind:     global_buffer
      - .offset:         32
        .size:           4
        .value_kind:     by_value
      - .offset:         36
        .size:           4
        .value_kind:     by_value
    .group_segment_fixed_size: 65536
    .kernarg_segment_align: 8
    .kernarg_segment_size: 40
    .language:       OpenCL C
    .language_version:
      - 2
      - 0
    .max_flat_workgroup_size: 1024
    .name:           _Z12wvSplitK_hf_I6__halfLi64ELi2ELi16ELi8ELi2ELi2EEviiPKT_S3_PS1_ii
    .private_segment_fixed_size: 0
    .sgpr_count:     36
    .sgpr_spill_count: 0
    .symbol:         _Z12wvSplitK_hf_I6__halfLi64ELi2ELi16ELi8ELi2ELi2EEviiPKT_S3_PS1_ii.kd
    .uniform_work_group_size: 1
    .uses_dynamic_stack: false
    .vgpr_count:     54
    .vgpr_spill_count: 0
    .wavefront_size: 64
  - .agpr_count:     0
    .args:
      - .offset:         0
        .size:           4
        .value_kind:     by_value
      - .offset:         4
        .size:           4
        .value_kind:     by_value
      - .address_space:  global
        .offset:         8
        .size:           8
        .value_kind:     global_buffer
      - .actual_access:  read_only
        .address_space:  global
        .offset:         16
        .size:           8
        .value_kind:     global_buffer
      - .address_space:  global
        .offset:         24
        .size:           8
        .value_kind:     global_buffer
      - .offset:         32
        .size:           4
        .value_kind:     by_value
      - .offset:         36
        .size:           4
        .value_kind:     by_value
    .group_segment_fixed_size: 65536
    .kernarg_segment_align: 8
    .kernarg_segment_size: 40
    .language:       OpenCL C
    .language_version:
      - 2
      - 0
    .max_flat_workgroup_size: 1024
    .name:           _Z16wvSplitK_hf_big_I6__halfLi64ELi2ELi16ELi8ELi2ELi2EEviiPKT_S3_PS1_ii
    .private_segment_fixed_size: 0
    .sgpr_count:     48
    .sgpr_spill_count: 0
    .symbol:         _Z16wvSplitK_hf_big_I6__halfLi64ELi2ELi16ELi8ELi2ELi2EEviiPKT_S3_PS1_ii.kd
    .uniform_work_group_size: 1
    .uses_dynamic_stack: false
    .vgpr_count:     58
    .vgpr_spill_count: 0
    .wavefront_size: 64
  - .agpr_count:     0
    .args:
      - .offset:         0
        .size:           4
        .value_kind:     by_value
      - .offset:         4
        .size:           4
        .value_kind:     by_value
      - .address_space:  global
        .offset:         8
        .size:           8
        .value_kind:     global_buffer
      - .actual_access:  read_only
        .address_space:  global
        .offset:         16
        .size:           8
        .value_kind:     global_buffer
      - .address_space:  global
        .offset:         24
        .size:           8
        .value_kind:     global_buffer
      - .offset:         32
        .size:           4
        .value_kind:     by_value
      - .offset:         36
        .size:           4
        .value_kind:     by_value
    .group_segment_fixed_size: 65536
    .kernarg_segment_align: 8
    .kernarg_segment_size: 40
    .language:       OpenCL C
    .language_version:
      - 2
      - 0
    .max_flat_workgroup_size: 1024
    .name:           _Z16wvSplitK_hf_sml_I6__halfLi64ELi4ELi16ELi8ELi1ELi3EEviiPKT_S3_PS1_ii
    .private_segment_fixed_size: 0
    .sgpr_count:     29
    .sgpr_spill_count: 0
    .symbol:         _Z16wvSplitK_hf_sml_I6__halfLi64ELi4ELi16ELi8ELi1ELi3EEviiPKT_S3_PS1_ii.kd
    .uniform_work_group_size: 1
    .uses_dynamic_stack: false
    .vgpr_count:     47
    .vgpr_spill_count: 0
    .wavefront_size: 64
  - .agpr_count:     0
    .args:
      - .offset:         0
        .size:           4
        .value_kind:     by_value
      - .offset:         4
        .size:           4
        .value_kind:     by_value
      - .address_space:  global
        .offset:         8
        .size:           8
        .value_kind:     global_buffer
      - .actual_access:  read_only
        .address_space:  global
        .offset:         16
        .size:           8
        .value_kind:     global_buffer
      - .address_space:  global
        .offset:         24
        .size:           8
        .value_kind:     global_buffer
      - .offset:         32
        .size:           4
        .value_kind:     by_value
      - .offset:         36
        .size:           4
        .value_kind:     by_value
    .group_segment_fixed_size: 65536
    .kernarg_segment_align: 8
    .kernarg_segment_size: 40
    .language:       OpenCL C
    .language_version:
      - 2
      - 0
    .max_flat_workgroup_size: 1024
    .name:           _Z12wvSplitK_hf_I6__halfLi64ELi7ELi16ELi8ELi1ELi3EEviiPKT_S3_PS1_ii
    .private_segment_fixed_size: 0
    .sgpr_count:     44
    .sgpr_spill_count: 0
    .symbol:         _Z12wvSplitK_hf_I6__halfLi64ELi7ELi16ELi8ELi1ELi3EEviiPKT_S3_PS1_ii.kd
    .uniform_work_group_size: 1
    .uses_dynamic_stack: false
    .vgpr_count:     75
    .vgpr_spill_count: 0
    .wavefront_size: 64
  - .agpr_count:     0
    .args:
      - .offset:         0
        .size:           4
        .value_kind:     by_value
      - .offset:         4
        .size:           4
        .value_kind:     by_value
      - .address_space:  global
        .offset:         8
        .size:           8
        .value_kind:     global_buffer
      - .actual_access:  read_only
        .address_space:  global
        .offset:         16
        .size:           8
        .value_kind:     global_buffer
      - .address_space:  global
        .offset:         24
        .size:           8
        .value_kind:     global_buffer
      - .offset:         32
        .size:           4
        .value_kind:     by_value
      - .offset:         36
        .size:           4
        .value_kind:     by_value
    .group_segment_fixed_size: 65536
    .kernarg_segment_align: 8
    .kernarg_segment_size: 40
    .language:       OpenCL C
    .language_version:
      - 2
      - 0
    .max_flat_workgroup_size: 1024
    .name:           _Z16wvSplitK_hf_big_I6__halfLi64ELi7ELi16ELi8ELi1ELi3EEviiPKT_S3_PS1_ii
    .private_segment_fixed_size: 0
    .sgpr_count:     54
    .sgpr_spill_count: 0
    .symbol:         _Z16wvSplitK_hf_big_I6__halfLi64ELi7ELi16ELi8ELi1ELi3EEviiPKT_S3_PS1_ii.kd
    .uniform_work_group_size: 1
    .uses_dynamic_stack: false
    .vgpr_count:     79
    .vgpr_spill_count: 0
    .wavefront_size: 64
  - .agpr_count:     0
    .args:
      - .offset:         0
        .size:           4
        .value_kind:     by_value
      - .offset:         4
        .size:           4
        .value_kind:     by_value
      - .address_space:  global
        .offset:         8
        .size:           8
        .value_kind:     global_buffer
      - .actual_access:  read_only
        .address_space:  global
        .offset:         16
        .size:           8
        .value_kind:     global_buffer
      - .address_space:  global
        .offset:         24
        .size:           8
        .value_kind:     global_buffer
      - .offset:         32
        .size:           4
        .value_kind:     by_value
      - .offset:         36
        .size:           4
        .value_kind:     by_value
    .group_segment_fixed_size: 65536
    .kernarg_segment_align: 8
    .kernarg_segment_size: 40
    .language:       OpenCL C
    .language_version:
      - 2
      - 0
    .max_flat_workgroup_size: 1024
    .name:           _Z16wvSplitK_hf_sml_I6__halfLi64ELi4ELi16ELi8ELi1ELi4EEviiPKT_S3_PS1_ii
    .private_segment_fixed_size: 0
    .sgpr_count:     30
    .sgpr_spill_count: 0
    .symbol:         _Z16wvSplitK_hf_sml_I6__halfLi64ELi4ELi16ELi8ELi1ELi4EEviiPKT_S3_PS1_ii.kd
    .uniform_work_group_size: 1
    .uses_dynamic_stack: false
    .vgpr_count:     55
    .vgpr_spill_count: 0
    .wavefront_size: 64
  - .agpr_count:     0
    .args:
      - .offset:         0
        .size:           4
        .value_kind:     by_value
      - .offset:         4
        .size:           4
        .value_kind:     by_value
      - .address_space:  global
        .offset:         8
        .size:           8
        .value_kind:     global_buffer
      - .actual_access:  read_only
        .address_space:  global
        .offset:         16
        .size:           8
        .value_kind:     global_buffer
      - .address_space:  global
        .offset:         24
        .size:           8
        .value_kind:     global_buffer
      - .offset:         32
        .size:           4
        .value_kind:     by_value
      - .offset:         36
        .size:           4
        .value_kind:     by_value
    .group_segment_fixed_size: 65536
    .kernarg_segment_align: 8
    .kernarg_segment_size: 40
    .language:       OpenCL C
    .language_version:
      - 2
      - 0
    .max_flat_workgroup_size: 1024
    .name:           _Z12wvSplitK_hf_I6__halfLi64ELi7ELi16ELi8ELi1ELi4EEviiPKT_S3_PS1_ii
    .private_segment_fixed_size: 0
    .sgpr_count:     47
    .sgpr_spill_count: 0
    .symbol:         _Z12wvSplitK_hf_I6__halfLi64ELi7ELi16ELi8ELi1ELi4EEviiPKT_S3_PS1_ii.kd
    .uniform_work_group_size: 1
    .uses_dynamic_stack: false
    .vgpr_count:     91
    .vgpr_spill_count: 0
    .wavefront_size: 64
  - .agpr_count:     0
    .args:
      - .offset:         0
        .size:           4
        .value_kind:     by_value
      - .offset:         4
        .size:           4
        .value_kind:     by_value
      - .address_space:  global
        .offset:         8
        .size:           8
        .value_kind:     global_buffer
      - .actual_access:  read_only
        .address_space:  global
        .offset:         16
        .size:           8
        .value_kind:     global_buffer
      - .address_space:  global
        .offset:         24
        .size:           8
        .value_kind:     global_buffer
      - .offset:         32
        .size:           4
        .value_kind:     by_value
      - .offset:         36
        .size:           4
        .value_kind:     by_value
    .group_segment_fixed_size: 65536
    .kernarg_segment_align: 8
    .kernarg_segment_size: 40
    .language:       OpenCL C
    .language_version:
      - 2
      - 0
    .max_flat_workgroup_size: 1024
    .name:           _Z16wvSplitK_hf_big_I6__halfLi64ELi7ELi16ELi8ELi1ELi4EEviiPKT_S3_PS1_ii
    .private_segment_fixed_size: 0
    .sgpr_count:     54
    .sgpr_spill_count: 0
    .symbol:         _Z16wvSplitK_hf_big_I6__halfLi64ELi7ELi16ELi8ELi1ELi4EEviiPKT_S3_PS1_ii.kd
    .uniform_work_group_size: 1
    .uses_dynamic_stack: false
    .vgpr_count:     92
    .vgpr_spill_count: 0
    .wavefront_size: 64
  - .agpr_count:     0
    .args:
      - .offset:         0
        .size:           4
        .value_kind:     by_value
      - .offset:         4
        .size:           4
        .value_kind:     by_value
      - .address_space:  global
        .offset:         8
        .size:           8
        .value_kind:     global_buffer
      - .actual_access:  read_only
        .address_space:  global
        .offset:         16
        .size:           8
        .value_kind:     global_buffer
      - .address_space:  global
        .offset:         24
        .size:           8
        .value_kind:     global_buffer
      - .offset:         32
        .size:           4
        .value_kind:     by_value
      - .offset:         36
        .size:           4
        .value_kind:     by_value
    .group_segment_fixed_size: 65536
    .kernarg_segment_align: 8
    .kernarg_segment_size: 40
    .language:       OpenCL C
    .language_version:
      - 2
      - 0
    .max_flat_workgroup_size: 1024
    .name:           _Z16wvSplitK_hf_sml_I14__hip_bfloat16Li64ELi2ELi16ELi8ELi2ELi1EEviiPKT_S3_PS1_ii
    .private_segment_fixed_size: 0
    .sgpr_count:     31
    .sgpr_spill_count: 0
    .symbol:         _Z16wvSplitK_hf_sml_I14__hip_bfloat16Li64ELi2ELi16ELi8ELi2ELi1EEviiPKT_S3_PS1_ii.kd
    .uniform_work_group_size: 1
    .uses_dynamic_stack: false
    .vgpr_count:     46
    .vgpr_spill_count: 0
    .wavefront_size: 64
  - .agpr_count:     0
    .args:
      - .offset:         0
        .size:           4
        .value_kind:     by_value
      - .offset:         4
        .size:           4
        .value_kind:     by_value
      - .address_space:  global
        .offset:         8
        .size:           8
        .value_kind:     global_buffer
      - .actual_access:  read_only
        .address_space:  global
        .offset:         16
        .size:           8
        .value_kind:     global_buffer
      - .address_space:  global
        .offset:         24
        .size:           8
        .value_kind:     global_buffer
      - .offset:         32
        .size:           4
        .value_kind:     by_value
      - .offset:         36
        .size:           4
        .value_kind:     by_value
    .group_segment_fixed_size: 65536
    .kernarg_segment_align: 8
    .kernarg_segment_size: 40
    .language:       OpenCL C
    .language_version:
      - 2
      - 0
    .max_flat_workgroup_size: 1024
    .name:           _Z12wvSplitK_hf_I14__hip_bfloat16Li64ELi2ELi16ELi8ELi2ELi1EEviiPKT_S3_PS1_ii
    .private_segment_fixed_size: 0
    .sgpr_count:     36
    .sgpr_spill_count: 0
    .symbol:         _Z12wvSplitK_hf_I14__hip_bfloat16Li64ELi2ELi16ELi8ELi2ELi1EEviiPKT_S3_PS1_ii.kd
    .uniform_work_group_size: 1
    .uses_dynamic_stack: false
    .vgpr_count:     48
    .vgpr_spill_count: 0
    .wavefront_size: 64
  - .agpr_count:     0
    .args:
      - .offset:         0
        .size:           4
        .value_kind:     by_value
      - .offset:         4
        .size:           4
        .value_kind:     by_value
      - .address_space:  global
        .offset:         8
        .size:           8
        .value_kind:     global_buffer
      - .actual_access:  read_only
        .address_space:  global
        .offset:         16
        .size:           8
        .value_kind:     global_buffer
      - .address_space:  global
        .offset:         24
        .size:           8
        .value_kind:     global_buffer
      - .offset:         32
        .size:           4
        .value_kind:     by_value
      - .offset:         36
        .size:           4
        .value_kind:     by_value
    .group_segment_fixed_size: 65536
    .kernarg_segment_align: 8
    .kernarg_segment_size: 40
    .language:       OpenCL C
    .language_version:
      - 2
      - 0
    .max_flat_workgroup_size: 1024
    .name:           _Z16wvSplitK_hf_big_I14__hip_bfloat16Li64ELi2ELi16ELi8ELi2ELi1EEviiPKT_S3_PS1_ii
    .private_segment_fixed_size: 0
    .sgpr_count:     48
    .sgpr_spill_count: 0
    .symbol:         _Z16wvSplitK_hf_big_I14__hip_bfloat16Li64ELi2ELi16ELi8ELi2ELi1EEviiPKT_S3_PS1_ii.kd
    .uniform_work_group_size: 1
    .uses_dynamic_stack: false
    .vgpr_count:     46
    .vgpr_spill_count: 0
    .wavefront_size: 64
  - .agpr_count:     0
    .args:
      - .offset:         0
        .size:           4
        .value_kind:     by_value
      - .offset:         4
        .size:           4
        .value_kind:     by_value
      - .address_space:  global
        .offset:         8
        .size:           8
        .value_kind:     global_buffer
      - .actual_access:  read_only
        .address_space:  global
        .offset:         16
        .size:           8
        .value_kind:     global_buffer
      - .address_space:  global
        .offset:         24
        .size:           8
        .value_kind:     global_buffer
      - .offset:         32
        .size:           4
        .value_kind:     by_value
      - .offset:         36
        .size:           4
        .value_kind:     by_value
    .group_segment_fixed_size: 65536
    .kernarg_segment_align: 8
    .kernarg_segment_size: 40
    .language:       OpenCL C
    .language_version:
      - 2
      - 0
    .max_flat_workgroup_size: 1024
    .name:           _Z16wvSplitK_hf_sml_I14__hip_bfloat16Li64ELi2ELi16ELi8ELi2ELi2EEviiPKT_S3_PS1_ii
    .private_segment_fixed_size: 0
    .sgpr_count:     32
    .sgpr_spill_count: 0
    .symbol:         _Z16wvSplitK_hf_sml_I14__hip_bfloat16Li64ELi2ELi16ELi8ELi2ELi2EEviiPKT_S3_PS1_ii.kd
    .uniform_work_group_size: 1
    .uses_dynamic_stack: false
    .vgpr_count:     60
    .vgpr_spill_count: 0
    .wavefront_size: 64
  - .agpr_count:     0
    .args:
      - .offset:         0
        .size:           4
        .value_kind:     by_value
      - .offset:         4
        .size:           4
        .value_kind:     by_value
      - .address_space:  global
        .offset:         8
        .size:           8
        .value_kind:     global_buffer
      - .actual_access:  read_only
        .address_space:  global
        .offset:         16
        .size:           8
        .value_kind:     global_buffer
      - .address_space:  global
        .offset:         24
        .size:           8
        .value_kind:     global_buffer
      - .offset:         32
        .size:           4
        .value_kind:     by_value
      - .offset:         36
        .size:           4
        .value_kind:     by_value
    .group_segment_fixed_size: 65536
    .kernarg_segment_align: 8
    .kernarg_segment_size: 40
    .language:       OpenCL C
    .language_version:
      - 2
      - 0
    .max_flat_workgroup_size: 1024
    .name:           _Z12wvSplitK_hf_I14__hip_bfloat16Li64ELi2ELi16ELi8ELi2ELi2EEviiPKT_S3_PS1_ii
    .private_segment_fixed_size: 0
    .sgpr_count:     36
    .sgpr_spill_count: 0
    .symbol:         _Z12wvSplitK_hf_I14__hip_bfloat16Li64ELi2ELi16ELi8ELi2ELi2EEviiPKT_S3_PS1_ii.kd
    .uniform_work_group_size: 1
    .uses_dynamic_stack: false
    .vgpr_count:     66
    .vgpr_spill_count: 0
    .wavefront_size: 64
  - .agpr_count:     0
    .args:
      - .offset:         0
        .size:           4
        .value_kind:     by_value
      - .offset:         4
        .size:           4
        .value_kind:     by_value
      - .address_space:  global
        .offset:         8
        .size:           8
        .value_kind:     global_buffer
      - .actual_access:  read_only
        .address_space:  global
        .offset:         16
        .size:           8
        .value_kind:     global_buffer
      - .address_space:  global
        .offset:         24
        .size:           8
        .value_kind:     global_buffer
      - .offset:         32
        .size:           4
        .value_kind:     by_value
      - .offset:         36
        .size:           4
        .value_kind:     by_value
    .group_segment_fixed_size: 65536
    .kernarg_segment_align: 8
    .kernarg_segment_size: 40
    .language:       OpenCL C
    .language_version:
      - 2
      - 0
    .max_flat_workgroup_size: 1024
    .name:           _Z16wvSplitK_hf_big_I14__hip_bfloat16Li64ELi2ELi16ELi8ELi2ELi2EEviiPKT_S3_PS1_ii
    .private_segment_fixed_size: 0
    .sgpr_count:     48
    .sgpr_spill_count: 0
    .symbol:         _Z16wvSplitK_hf_big_I14__hip_bfloat16Li64ELi2ELi16ELi8ELi2ELi2EEviiPKT_S3_PS1_ii.kd
    .uniform_work_group_size: 1
    .uses_dynamic_stack: false
    .vgpr_count:     68
    .vgpr_spill_count: 0
    .wavefront_size: 64
  - .agpr_count:     0
    .args:
      - .offset:         0
        .size:           4
        .value_kind:     by_value
      - .offset:         4
        .size:           4
        .value_kind:     by_value
      - .address_space:  global
        .offset:         8
        .size:           8
        .value_kind:     global_buffer
      - .actual_access:  read_only
        .address_space:  global
        .offset:         16
        .size:           8
        .value_kind:     global_buffer
      - .address_space:  global
        .offset:         24
        .size:           8
        .value_kind:     global_buffer
      - .offset:         32
        .size:           4
        .value_kind:     by_value
      - .offset:         36
        .size:           4
        .value_kind:     by_value
    .group_segment_fixed_size: 65536
    .kernarg_segment_align: 8
    .kernarg_segment_size: 40
    .language:       OpenCL C
    .language_version:
      - 2
      - 0
    .max_flat_workgroup_size: 1024
    .name:           _Z16wvSplitK_hf_sml_I14__hip_bfloat16Li64ELi4ELi16ELi8ELi1ELi3EEviiPKT_S3_PS1_ii
    .private_segment_fixed_size: 0
    .sgpr_count:     32
    .sgpr_spill_count: 0
    .symbol:         _Z16wvSplitK_hf_sml_I14__hip_bfloat16Li64ELi4ELi16ELi8ELi1ELi3EEviiPKT_S3_PS1_ii.kd
    .uniform_work_group_size: 1
    .uses_dynamic_stack: false
    .vgpr_count:     84
    .vgpr_spill_count: 0
    .wavefront_size: 64
  - .agpr_count:     0
    .args:
      - .offset:         0
        .size:           4
        .value_kind:     by_value
      - .offset:         4
        .size:           4
        .value_kind:     by_value
      - .address_space:  global
        .offset:         8
        .size:           8
        .value_kind:     global_buffer
      - .actual_access:  read_only
        .address_space:  global
        .offset:         16
        .size:           8
        .value_kind:     global_buffer
      - .address_space:  global
        .offset:         24
        .size:           8
        .value_kind:     global_buffer
      - .offset:         32
        .size:           4
        .value_kind:     by_value
      - .offset:         36
        .size:           4
        .value_kind:     by_value
    .group_segment_fixed_size: 65536
    .kernarg_segment_align: 8
    .kernarg_segment_size: 40
    .language:       OpenCL C
    .language_version:
      - 2
      - 0
    .max_flat_workgroup_size: 1024
    .name:           _Z12wvSplitK_hf_I14__hip_bfloat16Li64ELi7ELi16ELi8ELi1ELi3EEviiPKT_S3_PS1_ii
    .private_segment_fixed_size: 16
    .sgpr_count:     36
    .sgpr_spill_count: 0
    .symbol:         _Z12wvSplitK_hf_I14__hip_bfloat16Li64ELi7ELi16ELi8ELi1ELi3EEviiPKT_S3_PS1_ii.kd
    .uniform_work_group_size: 1
    .uses_dynamic_stack: false
    .vgpr_count:     128
    .vgpr_spill_count: 3
    .wavefront_size: 64
  - .agpr_count:     0
    .args:
      - .offset:         0
        .size:           4
        .value_kind:     by_value
      - .offset:         4
        .size:           4
        .value_kind:     by_value
      - .address_space:  global
        .offset:         8
        .size:           8
        .value_kind:     global_buffer
      - .actual_access:  read_only
        .address_space:  global
        .offset:         16
        .size:           8
        .value_kind:     global_buffer
      - .address_space:  global
        .offset:         24
        .size:           8
        .value_kind:     global_buffer
      - .offset:         32
        .size:           4
        .value_kind:     by_value
      - .offset:         36
        .size:           4
        .value_kind:     by_value
    .group_segment_fixed_size: 65536
    .kernarg_segment_align: 8
    .kernarg_segment_size: 40
    .language:       OpenCL C
    .language_version:
      - 2
      - 0
    .max_flat_workgroup_size: 1024
    .name:           _Z16wvSplitK_hf_big_I14__hip_bfloat16Li64ELi7ELi16ELi8ELi1ELi3EEviiPKT_S3_PS1_ii
    .private_segment_fixed_size: 0
    .sgpr_count:     50
    .sgpr_spill_count: 0
    .symbol:         _Z16wvSplitK_hf_big_I14__hip_bfloat16Li64ELi7ELi16ELi8ELi1ELi3EEviiPKT_S3_PS1_ii.kd
    .uniform_work_group_size: 1
    .uses_dynamic_stack: false
    .vgpr_count:     124
    .vgpr_spill_count: 0
    .wavefront_size: 64
  - .agpr_count:     0
    .args:
      - .offset:         0
        .size:           4
        .value_kind:     by_value
      - .offset:         4
        .size:           4
        .value_kind:     by_value
      - .address_space:  global
        .offset:         8
        .size:           8
        .value_kind:     global_buffer
      - .actual_access:  read_only
        .address_space:  global
        .offset:         16
        .size:           8
        .value_kind:     global_buffer
      - .address_space:  global
        .offset:         24
        .size:           8
        .value_kind:     global_buffer
      - .offset:         32
        .size:           4
        .value_kind:     by_value
      - .offset:         36
        .size:           4
        .value_kind:     by_value
    .group_segment_fixed_size: 65536
    .kernarg_segment_align: 8
    .kernarg_segment_size: 40
    .language:       OpenCL C
    .language_version:
      - 2
      - 0
    .max_flat_workgroup_size: 1024
    .name:           _Z16wvSplitK_hf_sml_I14__hip_bfloat16Li64ELi4ELi16ELi8ELi1ELi4EEviiPKT_S3_PS1_ii
    .private_segment_fixed_size: 0
    .sgpr_count:     33
    .sgpr_spill_count: 0
    .symbol:         _Z16wvSplitK_hf_sml_I14__hip_bfloat16Li64ELi4ELi16ELi8ELi1ELi4EEviiPKT_S3_PS1_ii.kd
    .uniform_work_group_size: 1
    .uses_dynamic_stack: false
    .vgpr_count:     102
    .vgpr_spill_count: 0
    .wavefront_size: 64
  - .agpr_count:     0
    .args:
      - .offset:         0
        .size:           4
        .value_kind:     by_value
      - .offset:         4
        .size:           4
        .value_kind:     by_value
      - .address_space:  global
        .offset:         8
        .size:           8
        .value_kind:     global_buffer
      - .actual_access:  read_only
        .address_space:  global
        .offset:         16
        .size:           8
        .value_kind:     global_buffer
      - .address_space:  global
        .offset:         24
        .size:           8
        .value_kind:     global_buffer
      - .offset:         32
        .size:           4
        .value_kind:     by_value
      - .offset:         36
        .size:           4
        .value_kind:     by_value
    .group_segment_fixed_size: 65536
    .kernarg_segment_align: 8
    .kernarg_segment_size: 40
    .language:       OpenCL C
    .language_version:
      - 2
      - 0
    .max_flat_workgroup_size: 1024
    .name:           _Z12wvSplitK_hf_I14__hip_bfloat16Li64ELi7ELi16ELi8ELi1ELi4EEviiPKT_S3_PS1_ii
    .private_segment_fixed_size: 188
    .sgpr_count:     38
    .sgpr_spill_count: 0
    .symbol:         _Z12wvSplitK_hf_I14__hip_bfloat16Li64ELi7ELi16ELi8ELi1ELi4EEviiPKT_S3_PS1_ii.kd
    .uniform_work_group_size: 1
    .uses_dynamic_stack: false
    .vgpr_count:     128
    .vgpr_spill_count: 126
    .wavefront_size: 64
  - .agpr_count:     0
    .args:
      - .offset:         0
        .size:           4
        .value_kind:     by_value
      - .offset:         4
        .size:           4
        .value_kind:     by_value
      - .address_space:  global
        .offset:         8
        .size:           8
        .value_kind:     global_buffer
      - .actual_access:  read_only
        .address_space:  global
        .offset:         16
        .size:           8
        .value_kind:     global_buffer
      - .address_space:  global
        .offset:         24
        .size:           8
        .value_kind:     global_buffer
      - .offset:         32
        .size:           4
        .value_kind:     by_value
      - .offset:         36
        .size:           4
        .value_kind:     by_value
    .group_segment_fixed_size: 65536
    .kernarg_segment_align: 8
    .kernarg_segment_size: 40
    .language:       OpenCL C
    .language_version:
      - 2
      - 0
    .max_flat_workgroup_size: 1024
    .name:           _Z16wvSplitK_hf_big_I14__hip_bfloat16Li64ELi7ELi16ELi8ELi1ELi4EEviiPKT_S3_PS1_ii
    .private_segment_fixed_size: 168
    .sgpr_count:     50
    .sgpr_spill_count: 0
    .symbol:         _Z16wvSplitK_hf_big_I14__hip_bfloat16Li64ELi7ELi16ELi8ELi1ELi4EEviiPKT_S3_PS1_ii.kd
    .uniform_work_group_size: 1
    .uses_dynamic_stack: false
    .vgpr_count:     128
    .vgpr_spill_count: 83
    .wavefront_size: 64
  - .agpr_count:     0
    .args:
      - .offset:         0
        .size:           4
        .value_kind:     by_value
      - .offset:         4
        .size:           4
        .value_kind:     by_value
      - .offset:         8
        .size:           4
        .value_kind:     by_value
      - .address_space:  global
        .offset:         16
        .size:           8
        .value_kind:     global_buffer
      - .actual_access:  read_only
        .address_space:  global
        .offset:         24
        .size:           8
        .value_kind:     global_buffer
      - .address_space:  global
        .offset:         32
        .size:           8
        .value_kind:     global_buffer
      - .actual_access:  read_only
        .address_space:  global
        .offset:         40
        .size:           8
        .value_kind:     global_buffer
      - .actual_access:  read_only
        .address_space:  global
        .offset:         48
        .size:           8
        .value_kind:     global_buffer
      - .offset:         56
        .size:           4
        .value_kind:     by_value
      - .offset:         60
        .size:           4
        .value_kind:     by_value
    .group_segment_fixed_size: 65536
    .kernarg_segment_align: 8
    .kernarg_segment_size: 64
    .language:       OpenCL C
    .language_version:
      - 2
      - 0
    .max_flat_workgroup_size: 1024
    .name:           _Z17wvSplitKQ_hf_sml_I6__halfN3c1013Float8_e4m3fnELi64ELi2ELi16ELi16ELi2ELi1EEviiiPKT0_S5_PT_PKfS9_ii
    .private_segment_fixed_size: 0
    .sgpr_count:     31
    .sgpr_spill_count: 0
    .symbol:         _Z17wvSplitKQ_hf_sml_I6__halfN3c1013Float8_e4m3fnELi64ELi2ELi16ELi16ELi2ELi1EEviiiPKT0_S5_PT_PKfS9_ii.kd
    .uniform_work_group_size: 1
    .uses_dynamic_stack: false
    .vgpr_count:     64
    .vgpr_spill_count: 0
    .wavefront_size: 64
  - .agpr_count:     0
    .args:
      - .offset:         0
        .size:           4
        .value_kind:     by_value
      - .offset:         4
        .size:           4
        .value_kind:     by_value
      - .offset:         8
        .size:           4
        .value_kind:     by_value
      - .address_space:  global
        .offset:         16
        .size:           8
        .value_kind:     global_buffer
      - .actual_access:  read_only
        .address_space:  global
        .offset:         24
        .size:           8
        .value_kind:     global_buffer
      - .address_space:  global
        .offset:         32
        .size:           8
        .value_kind:     global_buffer
      - .actual_access:  read_only
        .address_space:  global
        .offset:         40
        .size:           8
        .value_kind:     global_buffer
      - .actual_access:  read_only
        .address_space:  global
        .offset:         48
        .size:           8
        .value_kind:     global_buffer
      - .offset:         56
        .size:           4
        .value_kind:     by_value
      - .offset:         60
        .size:           4
        .value_kind:     by_value
    .group_segment_fixed_size: 65536
    .kernarg_segment_align: 8
    .kernarg_segment_size: 64
    .language:       OpenCL C
    .language_version:
      - 2
      - 0
    .max_flat_workgroup_size: 1024
    .name:           _Z13wvSplitKQ_hf_I6__halfN3c1013Float8_e4m3fnELi64ELi2ELi16ELi16ELi2ELi1EEviiiPKT0_S5_PT_PKfS9_ii
    .private_segment_fixed_size: 0
    .sgpr_count:     38
    .sgpr_spill_count: 0
    .symbol:         _Z13wvSplitKQ_hf_I6__halfN3c1013Float8_e4m3fnELi64ELi2ELi16ELi16ELi2ELi1EEviiiPKT0_S5_PT_PKfS9_ii.kd
    .uniform_work_group_size: 1
    .uses_dynamic_stack: false
    .vgpr_count:     65
    .vgpr_spill_count: 0
    .wavefront_size: 64
  - .agpr_count:     0
    .args:
      - .offset:         0
        .size:           4
        .value_kind:     by_value
      - .offset:         4
        .size:           4
        .value_kind:     by_value
      - .offset:         8
        .size:           4
        .value_kind:     by_value
      - .address_space:  global
        .offset:         16
        .size:           8
        .value_kind:     global_buffer
      - .actual_access:  read_only
        .address_space:  global
        .offset:         24
        .size:           8
        .value_kind:     global_buffer
      - .address_space:  global
        .offset:         32
        .size:           8
        .value_kind:     global_buffer
      - .actual_access:  read_only
        .address_space:  global
        .offset:         40
        .size:           8
        .value_kind:     global_buffer
      - .actual_access:  read_only
        .address_space:  global
        .offset:         48
        .size:           8
        .value_kind:     global_buffer
      - .offset:         56
        .size:           4
        .value_kind:     by_value
      - .offset:         60
        .size:           4
        .value_kind:     by_value
    .group_segment_fixed_size: 65536
    .kernarg_segment_align: 8
    .kernarg_segment_size: 64
    .language:       OpenCL C
    .language_version:
      - 2
      - 0
    .max_flat_workgroup_size: 1024
    .name:           _Z17wvSplitKQ_hf_sml_I6__halfN3c1013Float8_e4m3fnELi64ELi2ELi16ELi16ELi2ELi2EEviiiPKT0_S5_PT_PKfS9_ii
    .private_segment_fixed_size: 0
    .sgpr_count:     31
    .sgpr_spill_count: 0
    .symbol:         _Z17wvSplitKQ_hf_sml_I6__halfN3c1013Float8_e4m3fnELi64ELi2ELi16ELi16ELi2ELi2EEviiiPKT0_S5_PT_PKfS9_ii.kd
    .uniform_work_group_size: 1
    .uses_dynamic_stack: false
    .vgpr_count:     105
    .vgpr_spill_count: 0
    .wavefront_size: 64
  - .agpr_count:     0
    .args:
      - .offset:         0
        .size:           4
        .value_kind:     by_value
      - .offset:         4
        .size:           4
        .value_kind:     by_value
      - .offset:         8
        .size:           4
        .value_kind:     by_value
      - .address_space:  global
        .offset:         16
        .size:           8
        .value_kind:     global_buffer
      - .actual_access:  read_only
        .address_space:  global
        .offset:         24
        .size:           8
        .value_kind:     global_buffer
      - .address_space:  global
        .offset:         32
        .size:           8
        .value_kind:     global_buffer
      - .actual_access:  read_only
        .address_space:  global
        .offset:         40
        .size:           8
        .value_kind:     global_buffer
      - .actual_access:  read_only
        .address_space:  global
        .offset:         48
        .size:           8
        .value_kind:     global_buffer
      - .offset:         56
        .size:           4
        .value_kind:     by_value
      - .offset:         60
        .size:           4
        .value_kind:     by_value
    .group_segment_fixed_size: 65536
    .kernarg_segment_align: 8
    .kernarg_segment_size: 64
    .language:       OpenCL C
    .language_version:
      - 2
      - 0
    .max_flat_workgroup_size: 1024
    .name:           _Z13wvSplitKQ_hf_I6__halfN3c1013Float8_e4m3fnELi64ELi2ELi16ELi16ELi2ELi2EEviiiPKT0_S5_PT_PKfS9_ii
    .private_segment_fixed_size: 0
    .sgpr_count:     38
    .sgpr_spill_count: 0
    .symbol:         _Z13wvSplitKQ_hf_I6__halfN3c1013Float8_e4m3fnELi64ELi2ELi16ELi16ELi2ELi2EEviiiPKT0_S5_PT_PKfS9_ii.kd
    .uniform_work_group_size: 1
    .uses_dynamic_stack: false
    .vgpr_count:     106
    .vgpr_spill_count: 0
    .wavefront_size: 64
  - .agpr_count:     0
    .args:
      - .offset:         0
        .size:           4
        .value_kind:     by_value
      - .offset:         4
        .size:           4
        .value_kind:     by_value
      - .offset:         8
        .size:           4
        .value_kind:     by_value
      - .address_space:  global
        .offset:         16
        .size:           8
        .value_kind:     global_buffer
      - .actual_access:  read_only
        .address_space:  global
        .offset:         24
        .size:           8
        .value_kind:     global_buffer
      - .address_space:  global
        .offset:         32
        .size:           8
        .value_kind:     global_buffer
      - .actual_access:  read_only
        .address_space:  global
        .offset:         40
        .size:           8
        .value_kind:     global_buffer
      - .actual_access:  read_only
        .address_space:  global
        .offset:         48
        .size:           8
        .value_kind:     global_buffer
      - .offset:         56
        .size:           4
        .value_kind:     by_value
      - .offset:         60
        .size:           4
        .value_kind:     by_value
    .group_segment_fixed_size: 65536
    .kernarg_segment_align: 8
    .kernarg_segment_size: 64
    .language:       OpenCL C
    .language_version:
      - 2
      - 0
    .max_flat_workgroup_size: 1024
    .name:           _Z17wvSplitKQ_hf_sml_I6__halfN3c1013Float8_e4m3fnELi64ELi4ELi16ELi16ELi1ELi3EEviiiPKT0_S5_PT_PKfS9_ii
    .private_segment_fixed_size: 732
    .sgpr_count:     32
    .sgpr_spill_count: 0
    .symbol:         _Z17wvSplitKQ_hf_sml_I6__halfN3c1013Float8_e4m3fnELi64ELi4ELi16ELi16ELi1ELi3EEviiiPKT0_S5_PT_PKfS9_ii.kd
    .uniform_work_group_size: 1
    .uses_dynamic_stack: false
    .vgpr_count:     127
    .vgpr_spill_count: 407
    .wavefront_size: 64
  - .agpr_count:     0
    .args:
      - .offset:         0
        .size:           4
        .value_kind:     by_value
      - .offset:         4
        .size:           4
        .value_kind:     by_value
      - .offset:         8
        .size:           4
        .value_kind:     by_value
      - .address_space:  global
        .offset:         16
        .size:           8
        .value_kind:     global_buffer
      - .actual_access:  read_only
        .address_space:  global
        .offset:         24
        .size:           8
        .value_kind:     global_buffer
      - .address_space:  global
        .offset:         32
        .size:           8
        .value_kind:     global_buffer
      - .actual_access:  read_only
        .address_space:  global
        .offset:         40
        .size:           8
        .value_kind:     global_buffer
      - .actual_access:  read_only
        .address_space:  global
        .offset:         48
        .size:           8
        .value_kind:     global_buffer
      - .offset:         56
        .size:           4
        .value_kind:     by_value
      - .offset:         60
        .size:           4
        .value_kind:     by_value
    .group_segment_fixed_size: 65536
    .kernarg_segment_align: 8
    .kernarg_segment_size: 64
    .language:       OpenCL C
    .language_version:
      - 2
      - 0
    .max_flat_workgroup_size: 1024
    .name:           _Z13wvSplitKQ_hf_I6__halfN3c1013Float8_e4m3fnELi64ELi7ELi16ELi16ELi1ELi3EEviiiPKT0_S5_PT_PKfS9_ii
    .private_segment_fixed_size: 2944
    .sgpr_count:     48
    .sgpr_spill_count: 0
    .symbol:         _Z13wvSplitKQ_hf_I6__halfN3c1013Float8_e4m3fnELi64ELi7ELi16ELi16ELi1ELi3EEviiiPKT0_S5_PT_PKfS9_ii.kd
    .uniform_work_group_size: 1
    .uses_dynamic_stack: false
    .vgpr_count:     128
    .vgpr_spill_count: 681
    .wavefront_size: 64
  - .agpr_count:     0
    .args:
      - .offset:         0
        .size:           4
        .value_kind:     by_value
      - .offset:         4
        .size:           4
        .value_kind:     by_value
      - .offset:         8
        .size:           4
        .value_kind:     by_value
      - .address_space:  global
        .offset:         16
        .size:           8
        .value_kind:     global_buffer
      - .actual_access:  read_only
        .address_space:  global
        .offset:         24
        .size:           8
        .value_kind:     global_buffer
      - .address_space:  global
        .offset:         32
        .size:           8
        .value_kind:     global_buffer
      - .actual_access:  read_only
        .address_space:  global
        .offset:         40
        .size:           8
        .value_kind:     global_buffer
      - .actual_access:  read_only
        .address_space:  global
        .offset:         48
        .size:           8
        .value_kind:     global_buffer
      - .offset:         56
        .size:           4
        .value_kind:     by_value
      - .offset:         60
        .size:           4
        .value_kind:     by_value
    .group_segment_fixed_size: 65536
    .kernarg_segment_align: 8
    .kernarg_segment_size: 64
    .language:       OpenCL C
    .language_version:
      - 2
      - 0
    .max_flat_workgroup_size: 1024
    .name:           _Z17wvSplitKQ_hf_sml_I6__halfN3c1013Float8_e4m3fnELi64ELi4ELi16ELi16ELi1ELi4EEviiiPKT0_S5_PT_PKfS9_ii
    .private_segment_fixed_size: 1984
    .sgpr_count:     34
    .sgpr_spill_count: 0
    .symbol:         _Z17wvSplitKQ_hf_sml_I6__halfN3c1013Float8_e4m3fnELi64ELi4ELi16ELi16ELi1ELi4EEviiiPKT0_S5_PT_PKfS9_ii.kd
    .uniform_work_group_size: 1
    .uses_dynamic_stack: false
    .vgpr_count:     128
    .vgpr_spill_count: 439
    .wavefront_size: 64
  - .agpr_count:     0
    .args:
      - .offset:         0
        .size:           4
        .value_kind:     by_value
      - .offset:         4
        .size:           4
        .value_kind:     by_value
      - .offset:         8
        .size:           4
        .value_kind:     by_value
      - .address_space:  global
        .offset:         16
        .size:           8
        .value_kind:     global_buffer
      - .actual_access:  read_only
        .address_space:  global
        .offset:         24
        .size:           8
        .value_kind:     global_buffer
      - .address_space:  global
        .offset:         32
        .size:           8
        .value_kind:     global_buffer
      - .actual_access:  read_only
        .address_space:  global
        .offset:         40
        .size:           8
        .value_kind:     global_buffer
      - .actual_access:  read_only
        .address_space:  global
        .offset:         48
        .size:           8
        .value_kind:     global_buffer
      - .offset:         56
        .size:           4
        .value_kind:     by_value
      - .offset:         60
        .size:           4
        .value_kind:     by_value
    .group_segment_fixed_size: 65536
    .kernarg_segment_align: 8
    .kernarg_segment_size: 64
    .language:       OpenCL C
    .language_version:
      - 2
      - 0
    .max_flat_workgroup_size: 1024
    .name:           _Z13wvSplitKQ_hf_I6__halfN3c1013Float8_e4m3fnELi64ELi7ELi16ELi16ELi1ELi4EEviiiPKT0_S5_PT_PKfS9_ii
    .private_segment_fixed_size: 3904
    .sgpr_count:     49
    .sgpr_spill_count: 0
    .symbol:         _Z13wvSplitKQ_hf_I6__halfN3c1013Float8_e4m3fnELi64ELi7ELi16ELi16ELi1ELi4EEviiiPKT0_S5_PT_PKfS9_ii.kd
    .uniform_work_group_size: 1
    .uses_dynamic_stack: false
    .vgpr_count:     128
    .vgpr_spill_count: 999
    .wavefront_size: 64
  - .agpr_count:     0
    .args:
      - .offset:         0
        .size:           4
        .value_kind:     by_value
      - .offset:         4
        .size:           4
        .value_kind:     by_value
      - .offset:         8
        .size:           4
        .value_kind:     by_value
      - .address_space:  global
        .offset:         16
        .size:           8
        .value_kind:     global_buffer
      - .actual_access:  read_only
        .address_space:  global
        .offset:         24
        .size:           8
        .value_kind:     global_buffer
      - .address_space:  global
        .offset:         32
        .size:           8
        .value_kind:     global_buffer
      - .actual_access:  read_only
        .address_space:  global
        .offset:         40
        .size:           8
        .value_kind:     global_buffer
      - .actual_access:  read_only
        .address_space:  global
        .offset:         48
        .size:           8
        .value_kind:     global_buffer
      - .offset:         56
        .size:           4
        .value_kind:     by_value
      - .offset:         60
        .size:           4
        .value_kind:     by_value
    .group_segment_fixed_size: 65536
    .kernarg_segment_align: 8
    .kernarg_segment_size: 64
    .language:       OpenCL C
    .language_version:
      - 2
      - 0
    .max_flat_workgroup_size: 1024
    .name:           _Z17wvSplitKQ_hf_sml_I6__halfN3c1015Float8_e4m3fnuzELi64ELi2ELi16ELi16ELi2ELi1EEviiiPKT0_S5_PT_PKfS9_ii
    .private_segment_fixed_size: 0
    .sgpr_count:     31
    .sgpr_spill_count: 0
    .symbol:         _Z17wvSplitKQ_hf_sml_I6__halfN3c1015Float8_e4m3fnuzELi64ELi2ELi16ELi16ELi2ELi1EEviiiPKT0_S5_PT_PKfS9_ii.kd
    .uniform_work_group_size: 1
    .uses_dynamic_stack: false
    .vgpr_count:     64
    .vgpr_spill_count: 0
    .wavefront_size: 64
  - .agpr_count:     0
    .args:
      - .offset:         0
        .size:           4
        .value_kind:     by_value
      - .offset:         4
        .size:           4
        .value_kind:     by_value
      - .offset:         8
        .size:           4
        .value_kind:     by_value
      - .address_space:  global
        .offset:         16
        .size:           8
        .value_kind:     global_buffer
      - .actual_access:  read_only
        .address_space:  global
        .offset:         24
        .size:           8
        .value_kind:     global_buffer
      - .address_space:  global
        .offset:         32
        .size:           8
        .value_kind:     global_buffer
      - .actual_access:  read_only
        .address_space:  global
        .offset:         40
        .size:           8
        .value_kind:     global_buffer
      - .actual_access:  read_only
        .address_space:  global
        .offset:         48
        .size:           8
        .value_kind:     global_buffer
      - .offset:         56
        .size:           4
        .value_kind:     by_value
      - .offset:         60
        .size:           4
        .value_kind:     by_value
    .group_segment_fixed_size: 65536
    .kernarg_segment_align: 8
    .kernarg_segment_size: 64
    .language:       OpenCL C
    .language_version:
      - 2
      - 0
    .max_flat_workgroup_size: 1024
    .name:           _Z13wvSplitKQ_hf_I6__halfN3c1015Float8_e4m3fnuzELi64ELi2ELi16ELi16ELi2ELi1EEviiiPKT0_S5_PT_PKfS9_ii
    .private_segment_fixed_size: 0
    .sgpr_count:     38
    .sgpr_spill_count: 0
    .symbol:         _Z13wvSplitKQ_hf_I6__halfN3c1015Float8_e4m3fnuzELi64ELi2ELi16ELi16ELi2ELi1EEviiiPKT0_S5_PT_PKfS9_ii.kd
    .uniform_work_group_size: 1
    .uses_dynamic_stack: false
    .vgpr_count:     65
    .vgpr_spill_count: 0
    .wavefront_size: 64
  - .agpr_count:     0
    .args:
      - .offset:         0
        .size:           4
        .value_kind:     by_value
      - .offset:         4
        .size:           4
        .value_kind:     by_value
      - .offset:         8
        .size:           4
        .value_kind:     by_value
      - .address_space:  global
        .offset:         16
        .size:           8
        .value_kind:     global_buffer
      - .actual_access:  read_only
        .address_space:  global
        .offset:         24
        .size:           8
        .value_kind:     global_buffer
      - .address_space:  global
        .offset:         32
        .size:           8
        .value_kind:     global_buffer
      - .actual_access:  read_only
        .address_space:  global
        .offset:         40
        .size:           8
        .value_kind:     global_buffer
      - .actual_access:  read_only
        .address_space:  global
        .offset:         48
        .size:           8
        .value_kind:     global_buffer
      - .offset:         56
        .size:           4
        .value_kind:     by_value
      - .offset:         60
        .size:           4
        .value_kind:     by_value
    .group_segment_fixed_size: 65536
    .kernarg_segment_align: 8
    .kernarg_segment_size: 64
    .language:       OpenCL C
    .language_version:
      - 2
      - 0
    .max_flat_workgroup_size: 1024
    .name:           _Z17wvSplitKQ_hf_sml_I6__halfN3c1015Float8_e4m3fnuzELi64ELi2ELi16ELi16ELi2ELi2EEviiiPKT0_S5_PT_PKfS9_ii
    .private_segment_fixed_size: 0
    .sgpr_count:     31
    .sgpr_spill_count: 0
    .symbol:         _Z17wvSplitKQ_hf_sml_I6__halfN3c1015Float8_e4m3fnuzELi64ELi2ELi16ELi16ELi2ELi2EEviiiPKT0_S5_PT_PKfS9_ii.kd
    .uniform_work_group_size: 1
    .uses_dynamic_stack: false
    .vgpr_count:     105
    .vgpr_spill_count: 0
    .wavefront_size: 64
  - .agpr_count:     0
    .args:
      - .offset:         0
        .size:           4
        .value_kind:     by_value
      - .offset:         4
        .size:           4
        .value_kind:     by_value
      - .offset:         8
        .size:           4
        .value_kind:     by_value
      - .address_space:  global
        .offset:         16
        .size:           8
        .value_kind:     global_buffer
      - .actual_access:  read_only
        .address_space:  global
        .offset:         24
        .size:           8
        .value_kind:     global_buffer
      - .address_space:  global
        .offset:         32
        .size:           8
        .value_kind:     global_buffer
      - .actual_access:  read_only
        .address_space:  global
        .offset:         40
        .size:           8
        .value_kind:     global_buffer
      - .actual_access:  read_only
        .address_space:  global
        .offset:         48
        .size:           8
        .value_kind:     global_buffer
      - .offset:         56
        .size:           4
        .value_kind:     by_value
      - .offset:         60
        .size:           4
        .value_kind:     by_value
    .group_segment_fixed_size: 65536
    .kernarg_segment_align: 8
    .kernarg_segment_size: 64
    .language:       OpenCL C
    .language_version:
      - 2
      - 0
    .max_flat_workgroup_size: 1024
    .name:           _Z13wvSplitKQ_hf_I6__halfN3c1015Float8_e4m3fnuzELi64ELi2ELi16ELi16ELi2ELi2EEviiiPKT0_S5_PT_PKfS9_ii
    .private_segment_fixed_size: 0
    .sgpr_count:     38
    .sgpr_spill_count: 0
    .symbol:         _Z13wvSplitKQ_hf_I6__halfN3c1015Float8_e4m3fnuzELi64ELi2ELi16ELi16ELi2ELi2EEviiiPKT0_S5_PT_PKfS9_ii.kd
    .uniform_work_group_size: 1
    .uses_dynamic_stack: false
    .vgpr_count:     106
    .vgpr_spill_count: 0
    .wavefront_size: 64
  - .agpr_count:     0
    .args:
      - .offset:         0
        .size:           4
        .value_kind:     by_value
      - .offset:         4
        .size:           4
        .value_kind:     by_value
      - .offset:         8
        .size:           4
        .value_kind:     by_value
      - .address_space:  global
        .offset:         16
        .size:           8
        .value_kind:     global_buffer
      - .actual_access:  read_only
        .address_space:  global
        .offset:         24
        .size:           8
        .value_kind:     global_buffer
      - .address_space:  global
        .offset:         32
        .size:           8
        .value_kind:     global_buffer
      - .actual_access:  read_only
        .address_space:  global
        .offset:         40
        .size:           8
        .value_kind:     global_buffer
      - .actual_access:  read_only
        .address_space:  global
        .offset:         48
        .size:           8
        .value_kind:     global_buffer
      - .offset:         56
        .size:           4
        .value_kind:     by_value
      - .offset:         60
        .size:           4
        .value_kind:     by_value
    .group_segment_fixed_size: 65536
    .kernarg_segment_align: 8
    .kernarg_segment_size: 64
    .language:       OpenCL C
    .language_version:
      - 2
      - 0
    .max_flat_workgroup_size: 1024
    .name:           _Z17wvSplitKQ_hf_sml_I6__halfN3c1015Float8_e4m3fnuzELi64ELi4ELi16ELi16ELi1ELi3EEviiiPKT0_S5_PT_PKfS9_ii
    .private_segment_fixed_size: 732
    .sgpr_count:     32
    .sgpr_spill_count: 0
    .symbol:         _Z17wvSplitKQ_hf_sml_I6__halfN3c1015Float8_e4m3fnuzELi64ELi4ELi16ELi16ELi1ELi3EEviiiPKT0_S5_PT_PKfS9_ii.kd
    .uniform_work_group_size: 1
    .uses_dynamic_stack: false
    .vgpr_count:     127
    .vgpr_spill_count: 407
    .wavefront_size: 64
  - .agpr_count:     0
    .args:
      - .offset:         0
        .size:           4
        .value_kind:     by_value
      - .offset:         4
        .size:           4
        .value_kind:     by_value
      - .offset:         8
        .size:           4
        .value_kind:     by_value
      - .address_space:  global
        .offset:         16
        .size:           8
        .value_kind:     global_buffer
      - .actual_access:  read_only
        .address_space:  global
        .offset:         24
        .size:           8
        .value_kind:     global_buffer
      - .address_space:  global
        .offset:         32
        .size:           8
        .value_kind:     global_buffer
      - .actual_access:  read_only
        .address_space:  global
        .offset:         40
        .size:           8
        .value_kind:     global_buffer
      - .actual_access:  read_only
        .address_space:  global
        .offset:         48
        .size:           8
        .value_kind:     global_buffer
      - .offset:         56
        .size:           4
        .value_kind:     by_value
      - .offset:         60
        .size:           4
        .value_kind:     by_value
    .group_segment_fixed_size: 65536
    .kernarg_segment_align: 8
    .kernarg_segment_size: 64
    .language:       OpenCL C
    .language_version:
      - 2
      - 0
    .max_flat_workgroup_size: 1024
    .name:           _Z13wvSplitKQ_hf_I6__halfN3c1015Float8_e4m3fnuzELi64ELi7ELi16ELi16ELi1ELi3EEviiiPKT0_S5_PT_PKfS9_ii
    .private_segment_fixed_size: 2944
    .sgpr_count:     48
    .sgpr_spill_count: 0
    .symbol:         _Z13wvSplitKQ_hf_I6__halfN3c1015Float8_e4m3fnuzELi64ELi7ELi16ELi16ELi1ELi3EEviiiPKT0_S5_PT_PKfS9_ii.kd
    .uniform_work_group_size: 1
    .uses_dynamic_stack: false
    .vgpr_count:     128
    .vgpr_spill_count: 681
    .wavefront_size: 64
  - .agpr_count:     0
    .args:
      - .offset:         0
        .size:           4
        .value_kind:     by_value
      - .offset:         4
        .size:           4
        .value_kind:     by_value
      - .offset:         8
        .size:           4
        .value_kind:     by_value
      - .address_space:  global
        .offset:         16
        .size:           8
        .value_kind:     global_buffer
      - .actual_access:  read_only
        .address_space:  global
        .offset:         24
        .size:           8
        .value_kind:     global_buffer
      - .address_space:  global
        .offset:         32
        .size:           8
        .value_kind:     global_buffer
      - .actual_access:  read_only
        .address_space:  global
        .offset:         40
        .size:           8
        .value_kind:     global_buffer
      - .actual_access:  read_only
        .address_space:  global
        .offset:         48
        .size:           8
        .value_kind:     global_buffer
      - .offset:         56
        .size:           4
        .value_kind:     by_value
      - .offset:         60
        .size:           4
        .value_kind:     by_value
    .group_segment_fixed_size: 65536
    .kernarg_segment_align: 8
    .kernarg_segment_size: 64
    .language:       OpenCL C
    .language_version:
      - 2
      - 0
    .max_flat_workgroup_size: 1024
    .name:           _Z17wvSplitKQ_hf_sml_I6__halfN3c1015Float8_e4m3fnuzELi64ELi4ELi16ELi16ELi1ELi4EEviiiPKT0_S5_PT_PKfS9_ii
    .private_segment_fixed_size: 1984
    .sgpr_count:     34
    .sgpr_spill_count: 0
    .symbol:         _Z17wvSplitKQ_hf_sml_I6__halfN3c1015Float8_e4m3fnuzELi64ELi4ELi16ELi16ELi1ELi4EEviiiPKT0_S5_PT_PKfS9_ii.kd
    .uniform_work_group_size: 1
    .uses_dynamic_stack: false
    .vgpr_count:     128
    .vgpr_spill_count: 439
    .wavefront_size: 64
  - .agpr_count:     0
    .args:
      - .offset:         0
        .size:           4
        .value_kind:     by_value
      - .offset:         4
        .size:           4
        .value_kind:     by_value
      - .offset:         8
        .size:           4
        .value_kind:     by_value
      - .address_space:  global
        .offset:         16
        .size:           8
        .value_kind:     global_buffer
      - .actual_access:  read_only
        .address_space:  global
        .offset:         24
        .size:           8
        .value_kind:     global_buffer
      - .address_space:  global
        .offset:         32
        .size:           8
        .value_kind:     global_buffer
      - .actual_access:  read_only
        .address_space:  global
        .offset:         40
        .size:           8
        .value_kind:     global_buffer
      - .actual_access:  read_only
        .address_space:  global
        .offset:         48
        .size:           8
        .value_kind:     global_buffer
      - .offset:         56
        .size:           4
        .value_kind:     by_value
      - .offset:         60
        .size:           4
        .value_kind:     by_value
    .group_segment_fixed_size: 65536
    .kernarg_segment_align: 8
    .kernarg_segment_size: 64
    .language:       OpenCL C
    .language_version:
      - 2
      - 0
    .max_flat_workgroup_size: 1024
    .name:           _Z13wvSplitKQ_hf_I6__halfN3c1015Float8_e4m3fnuzELi64ELi7ELi16ELi16ELi1ELi4EEviiiPKT0_S5_PT_PKfS9_ii
    .private_segment_fixed_size: 3904
    .sgpr_count:     49
    .sgpr_spill_count: 0
    .symbol:         _Z13wvSplitKQ_hf_I6__halfN3c1015Float8_e4m3fnuzELi64ELi7ELi16ELi16ELi1ELi4EEviiiPKT0_S5_PT_PKfS9_ii.kd
    .uniform_work_group_size: 1
    .uses_dynamic_stack: false
    .vgpr_count:     128
    .vgpr_spill_count: 999
    .wavefront_size: 64
  - .agpr_count:     0
    .args:
      - .offset:         0
        .size:           4
        .value_kind:     by_value
      - .offset:         4
        .size:           4
        .value_kind:     by_value
      - .offset:         8
        .size:           4
        .value_kind:     by_value
      - .address_space:  global
        .offset:         16
        .size:           8
        .value_kind:     global_buffer
      - .actual_access:  read_only
        .address_space:  global
        .offset:         24
        .size:           8
        .value_kind:     global_buffer
      - .address_space:  global
        .offset:         32
        .size:           8
        .value_kind:     global_buffer
      - .actual_access:  read_only
        .address_space:  global
        .offset:         40
        .size:           8
        .value_kind:     global_buffer
      - .actual_access:  read_only
        .address_space:  global
        .offset:         48
        .size:           8
        .value_kind:     global_buffer
      - .offset:         56
        .size:           4
        .value_kind:     by_value
      - .offset:         60
        .size:           4
        .value_kind:     by_value
    .group_segment_fixed_size: 65536
    .kernarg_segment_align: 8
    .kernarg_segment_size: 64
    .language:       OpenCL C
    .language_version:
      - 2
      - 0
    .max_flat_workgroup_size: 1024
    .name:           _Z17wvSplitKQ_hf_sml_I14__hip_bfloat16N3c1013Float8_e4m3fnELi64ELi2ELi16ELi16ELi2ELi1EEviiiPKT0_S5_PT_PKfS9_ii
    .private_segment_fixed_size: 0
    .sgpr_count:     33
    .sgpr_spill_count: 0
    .symbol:         _Z17wvSplitKQ_hf_sml_I14__hip_bfloat16N3c1013Float8_e4m3fnELi64ELi2ELi16ELi16ELi2ELi1EEviiiPKT0_S5_PT_PKfS9_ii.kd
    .uniform_work_group_size: 1
    .uses_dynamic_stack: false
    .vgpr_count:     64
    .vgpr_spill_count: 0
    .wavefront_size: 64
  - .agpr_count:     0
    .args:
      - .offset:         0
        .size:           4
        .value_kind:     by_value
      - .offset:         4
        .size:           4
        .value_kind:     by_value
      - .offset:         8
        .size:           4
        .value_kind:     by_value
      - .address_space:  global
        .offset:         16
        .size:           8
        .value_kind:     global_buffer
      - .actual_access:  read_only
        .address_space:  global
        .offset:         24
        .size:           8
        .value_kind:     global_buffer
      - .address_space:  global
        .offset:         32
        .size:           8
        .value_kind:     global_buffer
      - .actual_access:  read_only
        .address_space:  global
        .offset:         40
        .size:           8
        .value_kind:     global_buffer
      - .actual_access:  read_only
        .address_space:  global
        .offset:         48
        .size:           8
        .value_kind:     global_buffer
      - .offset:         56
        .size:           4
        .value_kind:     by_value
      - .offset:         60
        .size:           4
        .value_kind:     by_value
    .group_segment_fixed_size: 65536
    .kernarg_segment_align: 8
    .kernarg_segment_size: 64
    .language:       OpenCL C
    .language_version:
      - 2
      - 0
    .max_flat_workgroup_size: 1024
    .name:           _Z13wvSplitKQ_hf_I14__hip_bfloat16N3c1013Float8_e4m3fnELi64ELi2ELi16ELi16ELi2ELi1EEviiiPKT0_S5_PT_PKfS9_ii
    .private_segment_fixed_size: 0
    .sgpr_count:     41
    .sgpr_spill_count: 0
    .symbol:         _Z13wvSplitKQ_hf_I14__hip_bfloat16N3c1013Float8_e4m3fnELi64ELi2ELi16ELi16ELi2ELi1EEviiiPKT0_S5_PT_PKfS9_ii.kd
    .uniform_work_group_size: 1
    .uses_dynamic_stack: false
    .vgpr_count:     65
    .vgpr_spill_count: 0
    .wavefront_size: 64
  - .agpr_count:     0
    .args:
      - .offset:         0
        .size:           4
        .value_kind:     by_value
      - .offset:         4
        .size:           4
        .value_kind:     by_value
      - .offset:         8
        .size:           4
        .value_kind:     by_value
      - .address_space:  global
        .offset:         16
        .size:           8
        .value_kind:     global_buffer
      - .actual_access:  read_only
        .address_space:  global
        .offset:         24
        .size:           8
        .value_kind:     global_buffer
      - .address_space:  global
        .offset:         32
        .size:           8
        .value_kind:     global_buffer
      - .actual_access:  read_only
        .address_space:  global
        .offset:         40
        .size:           8
        .value_kind:     global_buffer
      - .actual_access:  read_only
        .address_space:  global
        .offset:         48
        .size:           8
        .value_kind:     global_buffer
      - .offset:         56
        .size:           4
        .value_kind:     by_value
      - .offset:         60
        .size:           4
        .value_kind:     by_value
    .group_segment_fixed_size: 65536
    .kernarg_segment_align: 8
    .kernarg_segment_size: 64
    .language:       OpenCL C
    .language_version:
      - 2
      - 0
    .max_flat_workgroup_size: 1024
    .name:           _Z17wvSplitKQ_hf_sml_I14__hip_bfloat16N3c1013Float8_e4m3fnELi64ELi2ELi16ELi16ELi2ELi2EEviiiPKT0_S5_PT_PKfS9_ii
    .private_segment_fixed_size: 0
    .sgpr_count:     33
    .sgpr_spill_count: 0
    .symbol:         _Z17wvSplitKQ_hf_sml_I14__hip_bfloat16N3c1013Float8_e4m3fnELi64ELi2ELi16ELi16ELi2ELi2EEviiiPKT0_S5_PT_PKfS9_ii.kd
    .uniform_work_group_size: 1
    .uses_dynamic_stack: false
    .vgpr_count:     105
    .vgpr_spill_count: 0
    .wavefront_size: 64
  - .agpr_count:     0
    .args:
      - .offset:         0
        .size:           4
        .value_kind:     by_value
      - .offset:         4
        .size:           4
        .value_kind:     by_value
      - .offset:         8
        .size:           4
        .value_kind:     by_value
      - .address_space:  global
        .offset:         16
        .size:           8
        .value_kind:     global_buffer
      - .actual_access:  read_only
        .address_space:  global
        .offset:         24
        .size:           8
        .value_kind:     global_buffer
      - .address_space:  global
        .offset:         32
        .size:           8
        .value_kind:     global_buffer
      - .actual_access:  read_only
        .address_space:  global
        .offset:         40
        .size:           8
        .value_kind:     global_buffer
      - .actual_access:  read_only
        .address_space:  global
        .offset:         48
        .size:           8
        .value_kind:     global_buffer
      - .offset:         56
        .size:           4
        .value_kind:     by_value
      - .offset:         60
        .size:           4
        .value_kind:     by_value
    .group_segment_fixed_size: 65536
    .kernarg_segment_align: 8
    .kernarg_segment_size: 64
    .language:       OpenCL C
    .language_version:
      - 2
      - 0
    .max_flat_workgroup_size: 1024
    .name:           _Z13wvSplitKQ_hf_I14__hip_bfloat16N3c1013Float8_e4m3fnELi64ELi2ELi16ELi16ELi2ELi2EEviiiPKT0_S5_PT_PKfS9_ii
    .private_segment_fixed_size: 0
    .sgpr_count:     41
    .sgpr_spill_count: 0
    .symbol:         _Z13wvSplitKQ_hf_I14__hip_bfloat16N3c1013Float8_e4m3fnELi64ELi2ELi16ELi16ELi2ELi2EEviiiPKT0_S5_PT_PKfS9_ii.kd
    .uniform_work_group_size: 1
    .uses_dynamic_stack: false
    .vgpr_count:     106
    .vgpr_spill_count: 0
    .wavefront_size: 64
  - .agpr_count:     0
    .args:
      - .offset:         0
        .size:           4
        .value_kind:     by_value
      - .offset:         4
        .size:           4
        .value_kind:     by_value
      - .offset:         8
        .size:           4
        .value_kind:     by_value
      - .address_space:  global
        .offset:         16
        .size:           8
        .value_kind:     global_buffer
      - .actual_access:  read_only
        .address_space:  global
        .offset:         24
        .size:           8
        .value_kind:     global_buffer
      - .address_space:  global
        .offset:         32
        .size:           8
        .value_kind:     global_buffer
      - .actual_access:  read_only
        .address_space:  global
        .offset:         40
        .size:           8
        .value_kind:     global_buffer
      - .actual_access:  read_only
        .address_space:  global
        .offset:         48
        .size:           8
        .value_kind:     global_buffer
      - .offset:         56
        .size:           4
        .value_kind:     by_value
      - .offset:         60
        .size:           4
        .value_kind:     by_value
    .group_segment_fixed_size: 65536
    .kernarg_segment_align: 8
    .kernarg_segment_size: 64
    .language:       OpenCL C
    .language_version:
      - 2
      - 0
    .max_flat_workgroup_size: 1024
    .name:           _Z17wvSplitKQ_hf_sml_I14__hip_bfloat16N3c1013Float8_e4m3fnELi64ELi4ELi16ELi16ELi1ELi3EEviiiPKT0_S5_PT_PKfS9_ii
    .private_segment_fixed_size: 680
    .sgpr_count:     34
    .sgpr_spill_count: 0
    .symbol:         _Z17wvSplitKQ_hf_sml_I14__hip_bfloat16N3c1013Float8_e4m3fnELi64ELi4ELi16ELi16ELi1ELi3EEviiiPKT0_S5_PT_PKfS9_ii.kd
    .uniform_work_group_size: 1
    .uses_dynamic_stack: false
    .vgpr_count:     126
    .vgpr_spill_count: 412
    .wavefront_size: 64
  - .agpr_count:     0
    .args:
      - .offset:         0
        .size:           4
        .value_kind:     by_value
      - .offset:         4
        .size:           4
        .value_kind:     by_value
      - .offset:         8
        .size:           4
        .value_kind:     by_value
      - .address_space:  global
        .offset:         16
        .size:           8
        .value_kind:     global_buffer
      - .actual_access:  read_only
        .address_space:  global
        .offset:         24
        .size:           8
        .value_kind:     global_buffer
      - .address_space:  global
        .offset:         32
        .size:           8
        .value_kind:     global_buffer
      - .actual_access:  read_only
        .address_space:  global
        .offset:         40
        .size:           8
        .value_kind:     global_buffer
      - .actual_access:  read_only
        .address_space:  global
        .offset:         48
        .size:           8
        .value_kind:     global_buffer
      - .offset:         56
        .size:           4
        .value_kind:     by_value
      - .offset:         60
        .size:           4
        .value_kind:     by_value
    .group_segment_fixed_size: 65536
    .kernarg_segment_align: 8
    .kernarg_segment_size: 64
    .language:       OpenCL C
    .language_version:
      - 2
      - 0
    .max_flat_workgroup_size: 1024
    .name:           _Z13wvSplitKQ_hf_I14__hip_bfloat16N3c1013Float8_e4m3fnELi64ELi7ELi16ELi16ELi1ELi3EEviiiPKT0_S5_PT_PKfS9_ii
    .private_segment_fixed_size: 2944
    .sgpr_count:     50
    .sgpr_spill_count: 0
    .symbol:         _Z13wvSplitKQ_hf_I14__hip_bfloat16N3c1013Float8_e4m3fnELi64ELi7ELi16ELi16ELi1ELi3EEviiiPKT0_S5_PT_PKfS9_ii.kd
    .uniform_work_group_size: 1
    .uses_dynamic_stack: false
    .vgpr_count:     128
    .vgpr_spill_count: 701
    .wavefront_size: 64
  - .agpr_count:     0
    .args:
      - .offset:         0
        .size:           4
        .value_kind:     by_value
      - .offset:         4
        .size:           4
        .value_kind:     by_value
      - .offset:         8
        .size:           4
        .value_kind:     by_value
      - .address_space:  global
        .offset:         16
        .size:           8
        .value_kind:     global_buffer
      - .actual_access:  read_only
        .address_space:  global
        .offset:         24
        .size:           8
        .value_kind:     global_buffer
      - .address_space:  global
        .offset:         32
        .size:           8
        .value_kind:     global_buffer
      - .actual_access:  read_only
        .address_space:  global
        .offset:         40
        .size:           8
        .value_kind:     global_buffer
      - .actual_access:  read_only
        .address_space:  global
        .offset:         48
        .size:           8
        .value_kind:     global_buffer
      - .offset:         56
        .size:           4
        .value_kind:     by_value
      - .offset:         60
        .size:           4
        .value_kind:     by_value
    .group_segment_fixed_size: 65536
    .kernarg_segment_align: 8
    .kernarg_segment_size: 64
    .language:       OpenCL C
    .language_version:
      - 2
      - 0
    .max_flat_workgroup_size: 1024
    .name:           _Z17wvSplitKQ_hf_sml_I14__hip_bfloat16N3c1013Float8_e4m3fnELi64ELi4ELi16ELi16ELi1ELi4EEviiiPKT0_S5_PT_PKfS9_ii
    .private_segment_fixed_size: 1984
    .sgpr_count:     34
    .sgpr_spill_count: 0
    .symbol:         _Z17wvSplitKQ_hf_sml_I14__hip_bfloat16N3c1013Float8_e4m3fnELi64ELi4ELi16ELi16ELi1ELi4EEviiiPKT0_S5_PT_PKfS9_ii.kd
    .uniform_work_group_size: 1
    .uses_dynamic_stack: false
    .vgpr_count:     128
    .vgpr_spill_count: 439
    .wavefront_size: 64
  - .agpr_count:     0
    .args:
      - .offset:         0
        .size:           4
        .value_kind:     by_value
      - .offset:         4
        .size:           4
        .value_kind:     by_value
      - .offset:         8
        .size:           4
        .value_kind:     by_value
      - .address_space:  global
        .offset:         16
        .size:           8
        .value_kind:     global_buffer
      - .actual_access:  read_only
        .address_space:  global
        .offset:         24
        .size:           8
        .value_kind:     global_buffer
      - .address_space:  global
        .offset:         32
        .size:           8
        .value_kind:     global_buffer
      - .actual_access:  read_only
        .address_space:  global
        .offset:         40
        .size:           8
        .value_kind:     global_buffer
      - .actual_access:  read_only
        .address_space:  global
        .offset:         48
        .size:           8
        .value_kind:     global_buffer
      - .offset:         56
        .size:           4
        .value_kind:     by_value
      - .offset:         60
        .size:           4
        .value_kind:     by_value
    .group_segment_fixed_size: 65536
    .kernarg_segment_align: 8
    .kernarg_segment_size: 64
    .language:       OpenCL C
    .language_version:
      - 2
      - 0
    .max_flat_workgroup_size: 1024
    .name:           _Z13wvSplitKQ_hf_I14__hip_bfloat16N3c1013Float8_e4m3fnELi64ELi7ELi16ELi16ELi1ELi4EEviiiPKT0_S5_PT_PKfS9_ii
    .private_segment_fixed_size: 3904
    .sgpr_count:     51
    .sgpr_spill_count: 0
    .symbol:         _Z13wvSplitKQ_hf_I14__hip_bfloat16N3c1013Float8_e4m3fnELi64ELi7ELi16ELi16ELi1ELi4EEviiiPKT0_S5_PT_PKfS9_ii.kd
    .uniform_work_group_size: 1
    .uses_dynamic_stack: false
    .vgpr_count:     128
    .vgpr_spill_count: 1017
    .wavefront_size: 64
  - .agpr_count:     0
    .args:
      - .offset:         0
        .size:           4
        .value_kind:     by_value
      - .offset:         4
        .size:           4
        .value_kind:     by_value
      - .offset:         8
        .size:           4
        .value_kind:     by_value
      - .address_space:  global
        .offset:         16
        .size:           8
        .value_kind:     global_buffer
      - .actual_access:  read_only
        .address_space:  global
        .offset:         24
        .size:           8
        .value_kind:     global_buffer
      - .address_space:  global
        .offset:         32
        .size:           8
        .value_kind:     global_buffer
      - .actual_access:  read_only
        .address_space:  global
        .offset:         40
        .size:           8
        .value_kind:     global_buffer
      - .actual_access:  read_only
        .address_space:  global
        .offset:         48
        .size:           8
        .value_kind:     global_buffer
      - .offset:         56
        .size:           4
        .value_kind:     by_value
      - .offset:         60
        .size:           4
        .value_kind:     by_value
    .group_segment_fixed_size: 65536
    .kernarg_segment_align: 8
    .kernarg_segment_size: 64
    .language:       OpenCL C
    .language_version:
      - 2
      - 0
    .max_flat_workgroup_size: 1024
    .name:           _Z17wvSplitKQ_hf_sml_I14__hip_bfloat16N3c1015Float8_e4m3fnuzELi64ELi2ELi16ELi16ELi2ELi1EEviiiPKT0_S5_PT_PKfS9_ii
    .private_segment_fixed_size: 0
    .sgpr_count:     33
    .sgpr_spill_count: 0
    .symbol:         _Z17wvSplitKQ_hf_sml_I14__hip_bfloat16N3c1015Float8_e4m3fnuzELi64ELi2ELi16ELi16ELi2ELi1EEviiiPKT0_S5_PT_PKfS9_ii.kd
    .uniform_work_group_size: 1
    .uses_dynamic_stack: false
    .vgpr_count:     64
    .vgpr_spill_count: 0
    .wavefront_size: 64
  - .agpr_count:     0
    .args:
      - .offset:         0
        .size:           4
        .value_kind:     by_value
      - .offset:         4
        .size:           4
        .value_kind:     by_value
      - .offset:         8
        .size:           4
        .value_kind:     by_value
      - .address_space:  global
        .offset:         16
        .size:           8
        .value_kind:     global_buffer
      - .actual_access:  read_only
        .address_space:  global
        .offset:         24
        .size:           8
        .value_kind:     global_buffer
      - .address_space:  global
        .offset:         32
        .size:           8
        .value_kind:     global_buffer
      - .actual_access:  read_only
        .address_space:  global
        .offset:         40
        .size:           8
        .value_kind:     global_buffer
      - .actual_access:  read_only
        .address_space:  global
        .offset:         48
        .size:           8
        .value_kind:     global_buffer
      - .offset:         56
        .size:           4
        .value_kind:     by_value
      - .offset:         60
        .size:           4
        .value_kind:     by_value
    .group_segment_fixed_size: 65536
    .kernarg_segment_align: 8
    .kernarg_segment_size: 64
    .language:       OpenCL C
    .language_version:
      - 2
      - 0
    .max_flat_workgroup_size: 1024
    .name:           _Z13wvSplitKQ_hf_I14__hip_bfloat16N3c1015Float8_e4m3fnuzELi64ELi2ELi16ELi16ELi2ELi1EEviiiPKT0_S5_PT_PKfS9_ii
    .private_segment_fixed_size: 0
    .sgpr_count:     41
    .sgpr_spill_count: 0
    .symbol:         _Z13wvSplitKQ_hf_I14__hip_bfloat16N3c1015Float8_e4m3fnuzELi64ELi2ELi16ELi16ELi2ELi1EEviiiPKT0_S5_PT_PKfS9_ii.kd
    .uniform_work_group_size: 1
    .uses_dynamic_stack: false
    .vgpr_count:     65
    .vgpr_spill_count: 0
    .wavefront_size: 64
  - .agpr_count:     0
    .args:
      - .offset:         0
        .size:           4
        .value_kind:     by_value
      - .offset:         4
        .size:           4
        .value_kind:     by_value
      - .offset:         8
        .size:           4
        .value_kind:     by_value
      - .address_space:  global
        .offset:         16
        .size:           8
        .value_kind:     global_buffer
      - .actual_access:  read_only
        .address_space:  global
        .offset:         24
        .size:           8
        .value_kind:     global_buffer
      - .address_space:  global
        .offset:         32
        .size:           8
        .value_kind:     global_buffer
      - .actual_access:  read_only
        .address_space:  global
        .offset:         40
        .size:           8
        .value_kind:     global_buffer
      - .actual_access:  read_only
        .address_space:  global
        .offset:         48
        .size:           8
        .value_kind:     global_buffer
      - .offset:         56
        .size:           4
        .value_kind:     by_value
      - .offset:         60
        .size:           4
        .value_kind:     by_value
    .group_segment_fixed_size: 65536
    .kernarg_segment_align: 8
    .kernarg_segment_size: 64
    .language:       OpenCL C
    .language_version:
      - 2
      - 0
    .max_flat_workgroup_size: 1024
    .name:           _Z17wvSplitKQ_hf_sml_I14__hip_bfloat16N3c1015Float8_e4m3fnuzELi64ELi2ELi16ELi16ELi2ELi2EEviiiPKT0_S5_PT_PKfS9_ii
    .private_segment_fixed_size: 0
    .sgpr_count:     33
    .sgpr_spill_count: 0
    .symbol:         _Z17wvSplitKQ_hf_sml_I14__hip_bfloat16N3c1015Float8_e4m3fnuzELi64ELi2ELi16ELi16ELi2ELi2EEviiiPKT0_S5_PT_PKfS9_ii.kd
    .uniform_work_group_size: 1
    .uses_dynamic_stack: false
    .vgpr_count:     105
    .vgpr_spill_count: 0
    .wavefront_size: 64
  - .agpr_count:     0
    .args:
      - .offset:         0
        .size:           4
        .value_kind:     by_value
      - .offset:         4
        .size:           4
        .value_kind:     by_value
      - .offset:         8
        .size:           4
        .value_kind:     by_value
      - .address_space:  global
        .offset:         16
        .size:           8
        .value_kind:     global_buffer
      - .actual_access:  read_only
        .address_space:  global
        .offset:         24
        .size:           8
        .value_kind:     global_buffer
      - .address_space:  global
        .offset:         32
        .size:           8
        .value_kind:     global_buffer
      - .actual_access:  read_only
        .address_space:  global
        .offset:         40
        .size:           8
        .value_kind:     global_buffer
      - .actual_access:  read_only
        .address_space:  global
        .offset:         48
        .size:           8
        .value_kind:     global_buffer
      - .offset:         56
        .size:           4
        .value_kind:     by_value
      - .offset:         60
        .size:           4
        .value_kind:     by_value
    .group_segment_fixed_size: 65536
    .kernarg_segment_align: 8
    .kernarg_segment_size: 64
    .language:       OpenCL C
    .language_version:
      - 2
      - 0
    .max_flat_workgroup_size: 1024
    .name:           _Z13wvSplitKQ_hf_I14__hip_bfloat16N3c1015Float8_e4m3fnuzELi64ELi2ELi16ELi16ELi2ELi2EEviiiPKT0_S5_PT_PKfS9_ii
    .private_segment_fixed_size: 0
    .sgpr_count:     41
    .sgpr_spill_count: 0
    .symbol:         _Z13wvSplitKQ_hf_I14__hip_bfloat16N3c1015Float8_e4m3fnuzELi64ELi2ELi16ELi16ELi2ELi2EEviiiPKT0_S5_PT_PKfS9_ii.kd
    .uniform_work_group_size: 1
    .uses_dynamic_stack: false
    .vgpr_count:     106
    .vgpr_spill_count: 0
    .wavefront_size: 64
  - .agpr_count:     0
    .args:
      - .offset:         0
        .size:           4
        .value_kind:     by_value
      - .offset:         4
        .size:           4
        .value_kind:     by_value
      - .offset:         8
        .size:           4
        .value_kind:     by_value
      - .address_space:  global
        .offset:         16
        .size:           8
        .value_kind:     global_buffer
      - .actual_access:  read_only
        .address_space:  global
        .offset:         24
        .size:           8
        .value_kind:     global_buffer
      - .address_space:  global
        .offset:         32
        .size:           8
        .value_kind:     global_buffer
      - .actual_access:  read_only
        .address_space:  global
        .offset:         40
        .size:           8
        .value_kind:     global_buffer
      - .actual_access:  read_only
        .address_space:  global
        .offset:         48
        .size:           8
        .value_kind:     global_buffer
      - .offset:         56
        .size:           4
        .value_kind:     by_value
      - .offset:         60
        .size:           4
        .value_kind:     by_value
    .group_segment_fixed_size: 65536
    .kernarg_segment_align: 8
    .kernarg_segment_size: 64
    .language:       OpenCL C
    .language_version:
      - 2
      - 0
    .max_flat_workgroup_size: 1024
    .name:           _Z17wvSplitKQ_hf_sml_I14__hip_bfloat16N3c1015Float8_e4m3fnuzELi64ELi4ELi16ELi16ELi1ELi3EEviiiPKT0_S5_PT_PKfS9_ii
    .private_segment_fixed_size: 680
    .sgpr_count:     34
    .sgpr_spill_count: 0
    .symbol:         _Z17wvSplitKQ_hf_sml_I14__hip_bfloat16N3c1015Float8_e4m3fnuzELi64ELi4ELi16ELi16ELi1ELi3EEviiiPKT0_S5_PT_PKfS9_ii.kd
    .uniform_work_group_size: 1
    .uses_dynamic_stack: false
    .vgpr_count:     126
    .vgpr_spill_count: 412
    .wavefront_size: 64
  - .agpr_count:     0
    .args:
      - .offset:         0
        .size:           4
        .value_kind:     by_value
      - .offset:         4
        .size:           4
        .value_kind:     by_value
      - .offset:         8
        .size:           4
        .value_kind:     by_value
      - .address_space:  global
        .offset:         16
        .size:           8
        .value_kind:     global_buffer
      - .actual_access:  read_only
        .address_space:  global
        .offset:         24
        .size:           8
        .value_kind:     global_buffer
      - .address_space:  global
        .offset:         32
        .size:           8
        .value_kind:     global_buffer
      - .actual_access:  read_only
        .address_space:  global
        .offset:         40
        .size:           8
        .value_kind:     global_buffer
      - .actual_access:  read_only
        .address_space:  global
        .offset:         48
        .size:           8
        .value_kind:     global_buffer
      - .offset:         56
        .size:           4
        .value_kind:     by_value
      - .offset:         60
        .size:           4
        .value_kind:     by_value
    .group_segment_fixed_size: 65536
    .kernarg_segment_align: 8
    .kernarg_segment_size: 64
    .language:       OpenCL C
    .language_version:
      - 2
      - 0
    .max_flat_workgroup_size: 1024
    .name:           _Z13wvSplitKQ_hf_I14__hip_bfloat16N3c1015Float8_e4m3fnuzELi64ELi7ELi16ELi16ELi1ELi3EEviiiPKT0_S5_PT_PKfS9_ii
    .private_segment_fixed_size: 2944
    .sgpr_count:     50
    .sgpr_spill_count: 0
    .symbol:         _Z13wvSplitKQ_hf_I14__hip_bfloat16N3c1015Float8_e4m3fnuzELi64ELi7ELi16ELi16ELi1ELi3EEviiiPKT0_S5_PT_PKfS9_ii.kd
    .uniform_work_group_size: 1
    .uses_dynamic_stack: false
    .vgpr_count:     128
    .vgpr_spill_count: 701
    .wavefront_size: 64
  - .agpr_count:     0
    .args:
      - .offset:         0
        .size:           4
        .value_kind:     by_value
      - .offset:         4
        .size:           4
        .value_kind:     by_value
      - .offset:         8
        .size:           4
        .value_kind:     by_value
      - .address_space:  global
        .offset:         16
        .size:           8
        .value_kind:     global_buffer
      - .actual_access:  read_only
        .address_space:  global
        .offset:         24
        .size:           8
        .value_kind:     global_buffer
      - .address_space:  global
        .offset:         32
        .size:           8
        .value_kind:     global_buffer
      - .actual_access:  read_only
        .address_space:  global
        .offset:         40
        .size:           8
        .value_kind:     global_buffer
      - .actual_access:  read_only
        .address_space:  global
        .offset:         48
        .size:           8
        .value_kind:     global_buffer
      - .offset:         56
        .size:           4
        .value_kind:     by_value
      - .offset:         60
        .size:           4
        .value_kind:     by_value
    .group_segment_fixed_size: 65536
    .kernarg_segment_align: 8
    .kernarg_segment_size: 64
    .language:       OpenCL C
    .language_version:
      - 2
      - 0
    .max_flat_workgroup_size: 1024
    .name:           _Z17wvSplitKQ_hf_sml_I14__hip_bfloat16N3c1015Float8_e4m3fnuzELi64ELi4ELi16ELi16ELi1ELi4EEviiiPKT0_S5_PT_PKfS9_ii
    .private_segment_fixed_size: 1984
    .sgpr_count:     34
    .sgpr_spill_count: 0
    .symbol:         _Z17wvSplitKQ_hf_sml_I14__hip_bfloat16N3c1015Float8_e4m3fnuzELi64ELi4ELi16ELi16ELi1ELi4EEviiiPKT0_S5_PT_PKfS9_ii.kd
    .uniform_work_group_size: 1
    .uses_dynamic_stack: false
    .vgpr_count:     128
    .vgpr_spill_count: 439
    .wavefront_size: 64
  - .agpr_count:     0
    .args:
      - .offset:         0
        .size:           4
        .value_kind:     by_value
      - .offset:         4
        .size:           4
        .value_kind:     by_value
      - .offset:         8
        .size:           4
        .value_kind:     by_value
      - .address_space:  global
        .offset:         16
        .size:           8
        .value_kind:     global_buffer
      - .actual_access:  read_only
        .address_space:  global
        .offset:         24
        .size:           8
        .value_kind:     global_buffer
      - .address_space:  global
        .offset:         32
        .size:           8
        .value_kind:     global_buffer
      - .actual_access:  read_only
        .address_space:  global
        .offset:         40
        .size:           8
        .value_kind:     global_buffer
      - .actual_access:  read_only
        .address_space:  global
        .offset:         48
        .size:           8
        .value_kind:     global_buffer
      - .offset:         56
        .size:           4
        .value_kind:     by_value
      - .offset:         60
        .size:           4
        .value_kind:     by_value
    .group_segment_fixed_size: 65536
    .kernarg_segment_align: 8
    .kernarg_segment_size: 64
    .language:       OpenCL C
    .language_version:
      - 2
      - 0
    .max_flat_workgroup_size: 1024
    .name:           _Z13wvSplitKQ_hf_I14__hip_bfloat16N3c1015Float8_e4m3fnuzELi64ELi7ELi16ELi16ELi1ELi4EEviiiPKT0_S5_PT_PKfS9_ii
    .private_segment_fixed_size: 3904
    .sgpr_count:     51
    .sgpr_spill_count: 0
    .symbol:         _Z13wvSplitKQ_hf_I14__hip_bfloat16N3c1015Float8_e4m3fnuzELi64ELi7ELi16ELi16ELi1ELi4EEviiiPKT0_S5_PT_PKfS9_ii.kd
    .uniform_work_group_size: 1
    .uses_dynamic_stack: false
    .vgpr_count:     128
    .vgpr_spill_count: 1017
    .wavefront_size: 64
amdhsa.target:   amdgcn-amd-amdhsa--gfx942
amdhsa.version:
  - 1
  - 2
...

	.end_amdgpu_metadata
